;; amdgpu-corpus repo=ROCm/rocFFT kind=compiled arch=gfx1030 opt=O3
	.text
	.amdgcn_target "amdgcn-amd-amdhsa--gfx1030"
	.amdhsa_code_object_version 6
	.protected	fft_rtc_back_len595_factors_7_17_5_wgs_51_tpt_17_halfLds_dp_op_CI_CI_sbrr_dirReg ; -- Begin function fft_rtc_back_len595_factors_7_17_5_wgs_51_tpt_17_halfLds_dp_op_CI_CI_sbrr_dirReg
	.globl	fft_rtc_back_len595_factors_7_17_5_wgs_51_tpt_17_halfLds_dp_op_CI_CI_sbrr_dirReg
	.p2align	8
	.type	fft_rtc_back_len595_factors_7_17_5_wgs_51_tpt_17_halfLds_dp_op_CI_CI_sbrr_dirReg,@function
fft_rtc_back_len595_factors_7_17_5_wgs_51_tpt_17_halfLds_dp_op_CI_CI_sbrr_dirReg: ; @fft_rtc_back_len595_factors_7_17_5_wgs_51_tpt_17_halfLds_dp_op_CI_CI_sbrr_dirReg
; %bb.0:
	s_clause 0x1
	s_load_dwordx4 s[16:19], s[4:5], 0x18
	s_load_dwordx4 s[12:15], s[4:5], 0x0
	v_mul_u32_u24_e32 v1, 0xf10, v0
	s_mov_b64 s[62:63], s[2:3]
	s_mov_b64 s[60:61], s[0:1]
	v_mov_b32_e32 v6, 0
	v_mov_b32_e32 v7, 0
	v_lshrrev_b32_e32 v2, 16, v1
	v_mov_b32_e32 v1, 0
	s_add_u32 s60, s60, s7
	s_addc_u32 s61, s61, 0
	v_mov_b32_e32 v235, v7
	v_mad_u64_u32 v[4:5], null, s6, 3, v[2:3]
	v_mov_b32_e32 v5, v1
	v_mov_b32_e32 v234, v6
	s_load_dwordx4 s[8:11], s[4:5], 0x58
	s_waitcnt lgkmcnt(0)
	s_load_dwordx2 s[20:21], s[16:17], 0x0
	s_load_dwordx2 s[2:3], s[18:19], 0x0
	v_cmp_lt_u64_e64 s0, s[14:15], 2
	v_mov_b32_e32 v237, v5
	v_mov_b32_e32 v236, v4
	s_and_b32 vcc_lo, exec_lo, s0
	s_cbranch_vccnz .LBB0_8
; %bb.1:
	s_load_dwordx2 s[0:1], s[4:5], 0x10
	v_mov_b32_e32 v6, 0
	v_mov_b32_e32 v7, 0
	s_add_u32 s6, s18, 8
	v_mov_b32_e32 v9, v5
	s_addc_u32 s7, s19, 0
	v_mov_b32_e32 v8, v4
	v_mov_b32_e32 v235, v7
	s_add_u32 s22, s16, 8
	v_mov_b32_e32 v234, v6
	s_addc_u32 s23, s17, 0
	s_mov_b64 s[26:27], 1
	s_waitcnt lgkmcnt(0)
	s_add_u32 s24, s0, 8
	s_addc_u32 s25, s1, 0
.LBB0_2:                                ; =>This Inner Loop Header: Depth=1
	s_load_dwordx2 s[28:29], s[24:25], 0x0
                                        ; implicit-def: $vgpr236_vgpr237
	s_mov_b32 s0, exec_lo
	s_waitcnt lgkmcnt(0)
	v_or_b32_e32 v2, s29, v9
	v_cmpx_ne_u64_e32 0, v[1:2]
	s_xor_b32 s1, exec_lo, s0
	s_cbranch_execz .LBB0_4
; %bb.3:                                ;   in Loop: Header=BB0_2 Depth=1
	v_cvt_f32_u32_e32 v2, s28
	v_cvt_f32_u32_e32 v3, s29
	s_sub_u32 s0, 0, s28
	s_subb_u32 s30, 0, s29
	v_fmac_f32_e32 v2, 0x4f800000, v3
	v_rcp_f32_e32 v2, v2
	v_mul_f32_e32 v2, 0x5f7ffffc, v2
	v_mul_f32_e32 v3, 0x2f800000, v2
	v_trunc_f32_e32 v3, v3
	v_fmac_f32_e32 v2, 0xcf800000, v3
	v_cvt_u32_f32_e32 v3, v3
	v_cvt_u32_f32_e32 v2, v2
	v_mul_lo_u32 v5, s0, v3
	v_mul_hi_u32 v10, s0, v2
	v_mul_lo_u32 v11, s30, v2
	v_add_nc_u32_e32 v5, v10, v5
	v_mul_lo_u32 v10, s0, v2
	v_add_nc_u32_e32 v5, v5, v11
	v_mul_hi_u32 v11, v2, v10
	v_mul_lo_u32 v12, v2, v5
	v_mul_hi_u32 v13, v2, v5
	v_mul_hi_u32 v14, v3, v10
	v_mul_lo_u32 v10, v3, v10
	v_mul_hi_u32 v15, v3, v5
	v_mul_lo_u32 v5, v3, v5
	v_add_co_u32 v11, vcc_lo, v11, v12
	v_add_co_ci_u32_e32 v12, vcc_lo, 0, v13, vcc_lo
	v_add_co_u32 v10, vcc_lo, v11, v10
	v_add_co_ci_u32_e32 v10, vcc_lo, v12, v14, vcc_lo
	v_add_co_ci_u32_e32 v11, vcc_lo, 0, v15, vcc_lo
	v_add_co_u32 v5, vcc_lo, v10, v5
	v_add_co_ci_u32_e32 v10, vcc_lo, 0, v11, vcc_lo
	v_add_co_u32 v2, vcc_lo, v2, v5
	v_add_co_ci_u32_e32 v3, vcc_lo, v3, v10, vcc_lo
	v_mul_hi_u32 v5, s0, v2
	v_mul_lo_u32 v11, s30, v2
	v_mul_lo_u32 v10, s0, v3
	v_add_nc_u32_e32 v5, v5, v10
	v_mul_lo_u32 v10, s0, v2
	v_add_nc_u32_e32 v5, v5, v11
	v_mul_hi_u32 v11, v2, v10
	v_mul_lo_u32 v12, v2, v5
	v_mul_hi_u32 v13, v2, v5
	v_mul_hi_u32 v14, v3, v10
	v_mul_lo_u32 v10, v3, v10
	v_mul_hi_u32 v15, v3, v5
	v_mul_lo_u32 v5, v3, v5
	v_add_co_u32 v11, vcc_lo, v11, v12
	v_add_co_ci_u32_e32 v12, vcc_lo, 0, v13, vcc_lo
	v_add_co_u32 v10, vcc_lo, v11, v10
	v_add_co_ci_u32_e32 v10, vcc_lo, v12, v14, vcc_lo
	v_add_co_ci_u32_e32 v11, vcc_lo, 0, v15, vcc_lo
	v_add_co_u32 v5, vcc_lo, v10, v5
	v_add_co_ci_u32_e32 v10, vcc_lo, 0, v11, vcc_lo
	v_add_co_u32 v5, vcc_lo, v2, v5
	v_add_co_ci_u32_e32 v12, vcc_lo, v3, v10, vcc_lo
	v_mul_hi_u32 v14, v8, v5
	v_mad_u64_u32 v[10:11], null, v9, v5, 0
	v_mad_u64_u32 v[2:3], null, v8, v12, 0
	;; [unrolled: 1-line block ×3, first 2 shown]
	v_add_co_u32 v2, vcc_lo, v14, v2
	v_add_co_ci_u32_e32 v3, vcc_lo, 0, v3, vcc_lo
	v_add_co_u32 v2, vcc_lo, v2, v10
	v_add_co_ci_u32_e32 v2, vcc_lo, v3, v11, vcc_lo
	v_add_co_ci_u32_e32 v3, vcc_lo, 0, v13, vcc_lo
	v_add_co_u32 v5, vcc_lo, v2, v12
	v_add_co_ci_u32_e32 v10, vcc_lo, 0, v3, vcc_lo
	v_mul_lo_u32 v11, s29, v5
	v_mad_u64_u32 v[2:3], null, s28, v5, 0
	v_mul_lo_u32 v12, s28, v10
	v_sub_co_u32 v2, vcc_lo, v8, v2
	v_add3_u32 v3, v3, v12, v11
	v_sub_nc_u32_e32 v11, v9, v3
	v_subrev_co_ci_u32_e64 v11, s0, s29, v11, vcc_lo
	v_add_co_u32 v12, s0, v5, 2
	v_add_co_ci_u32_e64 v13, s0, 0, v10, s0
	v_sub_co_u32 v14, s0, v2, s28
	v_sub_co_ci_u32_e32 v3, vcc_lo, v9, v3, vcc_lo
	v_subrev_co_ci_u32_e64 v11, s0, 0, v11, s0
	v_cmp_le_u32_e32 vcc_lo, s28, v14
	v_cmp_eq_u32_e64 s0, s29, v3
	v_cndmask_b32_e64 v14, 0, -1, vcc_lo
	v_cmp_le_u32_e32 vcc_lo, s29, v11
	v_cndmask_b32_e64 v15, 0, -1, vcc_lo
	v_cmp_le_u32_e32 vcc_lo, s28, v2
	;; [unrolled: 2-line block ×3, first 2 shown]
	v_cndmask_b32_e64 v16, 0, -1, vcc_lo
	v_cmp_eq_u32_e32 vcc_lo, s29, v11
	v_cndmask_b32_e64 v2, v16, v2, s0
	v_cndmask_b32_e32 v11, v15, v14, vcc_lo
	v_add_co_u32 v14, vcc_lo, v5, 1
	v_add_co_ci_u32_e32 v15, vcc_lo, 0, v10, vcc_lo
	v_cmp_ne_u32_e32 vcc_lo, 0, v11
	v_cndmask_b32_e32 v3, v15, v13, vcc_lo
	v_cndmask_b32_e32 v11, v14, v12, vcc_lo
	v_cmp_ne_u32_e32 vcc_lo, 0, v2
	v_cndmask_b32_e32 v237, v10, v3, vcc_lo
	v_cndmask_b32_e32 v236, v5, v11, vcc_lo
.LBB0_4:                                ;   in Loop: Header=BB0_2 Depth=1
	s_andn2_saveexec_b32 s0, s1
	s_cbranch_execz .LBB0_6
; %bb.5:                                ;   in Loop: Header=BB0_2 Depth=1
	v_cvt_f32_u32_e32 v2, s28
	s_sub_i32 s1, 0, s28
	v_mov_b32_e32 v237, v1
	v_rcp_iflag_f32_e32 v2, v2
	v_mul_f32_e32 v2, 0x4f7ffffe, v2
	v_cvt_u32_f32_e32 v2, v2
	v_mul_lo_u32 v3, s1, v2
	v_mul_hi_u32 v3, v2, v3
	v_add_nc_u32_e32 v2, v2, v3
	v_mul_hi_u32 v2, v8, v2
	v_mul_lo_u32 v3, v2, s28
	v_add_nc_u32_e32 v5, 1, v2
	v_sub_nc_u32_e32 v3, v8, v3
	v_subrev_nc_u32_e32 v10, s28, v3
	v_cmp_le_u32_e32 vcc_lo, s28, v3
	v_cndmask_b32_e32 v3, v3, v10, vcc_lo
	v_cndmask_b32_e32 v2, v2, v5, vcc_lo
	v_cmp_le_u32_e32 vcc_lo, s28, v3
	v_add_nc_u32_e32 v5, 1, v2
	v_cndmask_b32_e32 v236, v2, v5, vcc_lo
.LBB0_6:                                ;   in Loop: Header=BB0_2 Depth=1
	s_or_b32 exec_lo, exec_lo, s0
	v_mul_lo_u32 v5, v237, s28
	v_mul_lo_u32 v10, v236, s29
	s_load_dwordx2 s[0:1], s[22:23], 0x0
	v_mad_u64_u32 v[2:3], null, v236, s28, 0
	s_load_dwordx2 s[28:29], s[6:7], 0x0
	s_add_u32 s26, s26, 1
	s_addc_u32 s27, s27, 0
	s_add_u32 s6, s6, 8
	s_addc_u32 s7, s7, 0
	s_add_u32 s22, s22, 8
	v_add3_u32 v3, v3, v10, v5
	v_sub_co_u32 v2, vcc_lo, v8, v2
	s_addc_u32 s23, s23, 0
	s_add_u32 s24, s24, 8
	v_sub_co_ci_u32_e32 v3, vcc_lo, v9, v3, vcc_lo
	s_addc_u32 s25, s25, 0
	s_waitcnt lgkmcnt(0)
	v_mul_lo_u32 v5, s0, v3
	v_mul_lo_u32 v8, s1, v2
	v_mad_u64_u32 v[6:7], null, s0, v2, v[6:7]
	v_mul_lo_u32 v3, s28, v3
	v_mul_lo_u32 v9, s29, v2
	v_mad_u64_u32 v[234:235], null, s28, v2, v[234:235]
	v_cmp_ge_u64_e64 s0, s[26:27], s[14:15]
	v_add3_u32 v7, v8, v7, v5
	v_add3_u32 v235, v9, v235, v3
	s_and_b32 vcc_lo, exec_lo, s0
	s_cbranch_vccnz .LBB0_8
; %bb.7:                                ;   in Loop: Header=BB0_2 Depth=1
	v_mov_b32_e32 v8, v236
	v_mov_b32_e32 v9, v237
	s_branch .LBB0_2
.LBB0_8:
	s_load_dwordx2 s[0:1], s[4:5], 0x28
	v_mul_hi_u32 v1, 0xf0f0f10, v0
	s_lshl_b64 s[6:7], s[14:15], 3
                                        ; implicit-def: $vgpr2
                                        ; implicit-def: $vgpr238
                                        ; implicit-def: $vgpr255
                                        ; implicit-def: $vgpr251
                                        ; kill: killed $vgpr2
                                        ; implicit-def: $vgpr2
	s_add_u32 s4, s18, s6
	s_addc_u32 s5, s19, s7
                                        ; kill: killed $vgpr2
	s_waitcnt lgkmcnt(0)
	v_cmp_gt_u64_e32 vcc_lo, s[0:1], v[236:237]
	v_cmp_le_u64_e64 s0, s[0:1], v[236:237]
	s_and_saveexec_b32 s1, s0
	s_xor_b32 s0, exec_lo, s1
	s_cbranch_execz .LBB0_10
; %bb.9:
	v_mul_u32_u24_e32 v1, 17, v1
                                        ; implicit-def: $vgpr6_vgpr7
	v_sub_nc_u32_e32 v238, v0, v1
                                        ; implicit-def: $vgpr1
	v_add_nc_u32_e32 v0, 51, v238
	v_add_nc_u32_e32 v255, 17, v238
	;; [unrolled: 1-line block ×3, first 2 shown]
	buffer_store_dword v0, off, s[60:63], 0 offset:12 ; 4-byte Folded Spill
	v_add_nc_u32_e32 v0, 0x44, v238
	buffer_store_dword v0, off, s[60:63], 0 offset:20 ; 4-byte Folded Spill
                                        ; implicit-def: $vgpr0
.LBB0_10:
	s_or_saveexec_b32 s1, s0
                                        ; implicit-def: $vgpr120_vgpr121
                                        ; implicit-def: $vgpr112_vgpr113
                                        ; implicit-def: $vgpr104_vgpr105
                                        ; implicit-def: $vgpr100_vgpr101
                                        ; implicit-def: $vgpr108_vgpr109
                                        ; implicit-def: $vgpr116_vgpr117
                                        ; implicit-def: $vgpr2_vgpr3
                                        ; implicit-def: $vgpr144_vgpr145
                                        ; implicit-def: $vgpr136_vgpr137
                                        ; implicit-def: $vgpr128_vgpr129
                                        ; implicit-def: $vgpr124_vgpr125
                                        ; implicit-def: $vgpr132_vgpr133
                                        ; implicit-def: $vgpr140_vgpr141
                                        ; implicit-def: $vgpr68_vgpr69
                                        ; implicit-def: $vgpr180_vgpr181
                                        ; implicit-def: $vgpr172_vgpr173
                                        ; implicit-def: $vgpr164_vgpr165
                                        ; implicit-def: $vgpr160_vgpr161
                                        ; implicit-def: $vgpr168_vgpr169
                                        ; implicit-def: $vgpr176_vgpr177
                                        ; implicit-def: $vgpr72_vgpr73
                                        ; implicit-def: $vgpr208_vgpr209
                                        ; implicit-def: $vgpr200_vgpr201
                                        ; implicit-def: $vgpr192_vgpr193
                                        ; implicit-def: $vgpr188_vgpr189
                                        ; implicit-def: $vgpr196_vgpr197
                                        ; implicit-def: $vgpr204_vgpr205
                                        ; implicit-def: $vgpr92_vgpr93
                                        ; implicit-def: $vgpr232_vgpr233
                                        ; implicit-def: $vgpr228_vgpr229
                                        ; implicit-def: $vgpr224_vgpr225
                                        ; implicit-def: $vgpr216_vgpr217
                                        ; implicit-def: $vgpr220_vgpr221
                                        ; implicit-def: $vgpr212_vgpr213
                                        ; implicit-def: $vgpr88_vgpr89
	s_xor_b32 exec_lo, exec_lo, s1
	s_cbranch_execz .LBB0_12
; %bb.11:
	s_add_u32 s6, s16, s6
	s_addc_u32 s7, s17, s7
	v_mul_u32_u24_e32 v1, 17, v1
	s_load_dwordx2 s[6:7], s[6:7], 0x0
	v_lshlrev_b64 v[2:3], 4, v[6:7]
	v_sub_nc_u32_e32 v238, v0, v1
	v_add_nc_u32_e32 v14, 0x55, v238
	v_add_nc_u32_e32 v17, 0xaa, v238
	v_mad_u64_u32 v[0:1], null, s20, v238, 0
	v_add_nc_u32_e32 v18, 0xff, v238
	v_mad_u64_u32 v[5:6], null, s20, v14, 0
	v_mad_u64_u32 v[7:8], null, s20, v17, 0
	v_add_nc_u32_e32 v19, 0x154, v238
	v_mad_u64_u32 v[11:12], null, s21, v238, v[1:2]
	s_waitcnt lgkmcnt(0)
	v_mul_lo_u32 v15, s7, v236
	v_mul_lo_u32 v16, s6, v237
	v_mad_u64_u32 v[9:10], null, s6, v236, 0
	v_mov_b32_e32 v1, v6
	v_mad_u64_u32 v[12:13], null, s20, v18, 0
	v_mov_b32_e32 v6, v8
	v_add_nc_u32_e32 v21, 17, v238
	v_add_nc_u32_e32 v23, 0x66, v238
	v_add3_u32 v10, v10, v16, v15
	v_mad_u64_u32 v[14:15], null, s21, v14, v[1:2]
	v_mov_b32_e32 v1, v11
	v_mad_u64_u32 v[15:16], null, s20, v19, 0
	v_lshlrev_b64 v[8:9], 4, v[9:10]
	v_mad_u64_u32 v[10:11], null, s21, v17, v[6:7]
	v_mov_b32_e32 v11, v13
	v_mov_b32_e32 v6, v14
	v_lshlrev_b64 v[0:1], 4, v[0:1]
	v_add_co_u32 v13, s0, s8, v8
	v_add_co_ci_u32_e64 v9, s0, s9, v9, s0
	v_mov_b32_e32 v8, v10
	v_add_co_u32 v29, s0, v13, v2
	v_add_co_ci_u32_e64 v30, s0, v9, v3, s0
	v_lshlrev_b64 v[2:3], 4, v[5:6]
	v_mad_u64_u32 v[5:6], null, s21, v18, v[11:12]
	v_add_nc_u32_e32 v11, 0x1a9, v238
	v_lshlrev_b64 v[6:7], 4, v[7:8]
	v_mov_b32_e32 v8, v16
	v_add_co_u32 v0, s0, v29, v0
	v_mad_u64_u32 v[17:18], null, s20, v11, 0
	v_add_co_ci_u32_e64 v1, s0, v30, v1, s0
	v_mov_b32_e32 v13, v5
	v_mad_u64_u32 v[8:9], null, s21, v19, v[8:9]
	v_add_co_u32 v2, s0, v29, v2
	v_add_nc_u32_e32 v19, 0x1fe, v238
	v_add_co_ci_u32_e64 v3, s0, v30, v3, s0
	v_add_co_u32 v5, s0, v29, v6
	v_lshlrev_b64 v[9:10], 4, v[12:13]
	v_add_co_ci_u32_e64 v6, s0, v30, v7, s0
	v_mov_b32_e32 v7, v18
	v_mad_u64_u32 v[13:14], null, s20, v19, 0
	v_mov_b32_e32 v16, v8
	v_mov_b32_e32 v255, v21
	v_mad_u64_u32 v[11:12], null, s21, v11, v[7:8]
	v_add_co_u32 v7, s0, v29, v9
	v_add_co_ci_u32_e64 v8, s0, v30, v10, s0
	v_lshlrev_b64 v[9:10], 4, v[15:16]
	v_mad_u64_u32 v[15:16], null, s20, v21, 0
	v_mov_b32_e32 v12, v14
	v_mov_b32_e32 v18, v11
	v_add_nc_u32_e32 v25, 0xbb, v238
	v_add_co_u32 v9, s0, v29, v9
	v_mad_u64_u32 v[11:12], null, s21, v19, v[12:13]
	v_mov_b32_e32 v12, v16
	v_mad_u64_u32 v[19:20], null, s20, v23, 0
	v_lshlrev_b64 v[17:18], 4, v[17:18]
	v_add_co_ci_u32_e64 v10, s0, v30, v10, s0
	v_mad_u64_u32 v[21:22], null, s21, v21, v[12:13]
	v_mov_b32_e32 v14, v11
	v_add_co_u32 v11, s0, v29, v17
	v_mov_b32_e32 v17, v20
	v_add_co_ci_u32_e64 v12, s0, v30, v18, s0
	v_mov_b32_e32 v16, v21
	v_mad_u64_u32 v[21:22], null, s20, v25, 0
	v_mad_u64_u32 v[17:18], null, s21, v23, v[17:18]
	v_add_nc_u32_e32 v27, 0x110, v238
	v_lshlrev_b64 v[13:14], 4, v[13:14]
	v_add_nc_u32_e32 v31, 0x165, v238
	v_lshlrev_b64 v[15:16], 4, v[15:16]
	v_mov_b32_e32 v18, v22
	v_mad_u64_u32 v[23:24], null, s20, v27, 0
	v_mov_b32_e32 v20, v17
	v_add_co_u32 v13, s0, v29, v13
	v_mad_u64_u32 v[17:18], null, s21, v25, v[18:19]
	v_lshlrev_b64 v[18:19], 4, v[19:20]
	v_mov_b32_e32 v20, v24
	v_mad_u64_u32 v[25:26], null, s20, v31, 0
	v_add_nc_u32_e32 v33, 0x1ba, v238
	v_add_co_ci_u32_e64 v14, s0, v30, v14, s0
	v_mad_u64_u32 v[27:28], null, s21, v27, v[20:21]
	v_add_co_u32 v15, s0, v29, v15
	v_mov_b32_e32 v22, v17
	v_add_co_ci_u32_e64 v16, s0, v30, v16, s0
	v_add_co_u32 v17, s0, v29, v18
	v_mov_b32_e32 v24, v27
	v_mad_u64_u32 v[27:28], null, s20, v33, 0
	v_add_co_ci_u32_e64 v18, s0, v30, v19, s0
	v_lshlrev_b64 v[19:20], 4, v[21:22]
	v_mov_b32_e32 v21, v26
	v_add_nc_u32_e32 v35, 0x20f, v238
	v_add_nc_u32_e32 v251, 34, v238
	;; [unrolled: 1-line block ×4, first 2 shown]
	v_mad_u64_u32 v[21:22], null, s21, v31, v[21:22]
	v_lshlrev_b64 v[22:23], 4, v[23:24]
	v_mov_b32_e32 v24, v28
	v_mad_u64_u32 v[31:32], null, s20, v35, 0
	v_add_co_u32 v19, s0, v29, v19
	v_mad_u64_u32 v[33:34], null, s21, v33, v[24:25]
	v_mov_b32_e32 v26, v21
	v_add_co_ci_u32_e64 v20, s0, v30, v20, s0
	v_add_co_u32 v21, s0, v29, v22
	v_add_co_ci_u32_e64 v22, s0, v30, v23, s0
	v_mov_b32_e32 v28, v33
	v_mad_u64_u32 v[33:34], null, s20, v251, 0
	v_lshlrev_b64 v[23:24], 4, v[25:26]
	v_mov_b32_e32 v25, v32
	v_add_nc_u32_e32 v43, 0x121, v238
	v_add_nc_u32_e32 v45, 0x176, v238
	v_add_nc_u32_e32 v47, 0x1cb, v238
	v_or_b32_e32 v49, 0x220, v238
	v_mad_u64_u32 v[25:26], null, s21, v35, v[25:26]
	v_lshlrev_b64 v[26:27], 4, v[27:28]
	v_mov_b32_e32 v28, v34
	v_mad_u64_u32 v[35:36], null, s20, v39, 0
	v_add_co_u32 v23, s0, v29, v23
	v_mad_u64_u32 v[37:38], null, s21, v251, v[28:29]
	v_mov_b32_e32 v32, v25
	v_add_co_ci_u32_e64 v24, s0, v30, v24, s0
	v_add_co_u32 v25, s0, v29, v26
	v_add_co_ci_u32_e64 v26, s0, v30, v27, s0
	v_mov_b32_e32 v34, v37
	v_mad_u64_u32 v[37:38], null, s20, v41, 0
	v_lshlrev_b64 v[27:28], 4, v[31:32]
	v_mov_b32_e32 v31, v36
	v_add_nc_u32_e32 v51, 51, v238
	v_add_nc_u32_e32 v53, 0x88, v238
	;; [unrolled: 1-line block ×4, first 2 shown]
	v_mad_u64_u32 v[31:32], null, s21, v39, v[31:32]
	v_lshlrev_b64 v[32:33], 4, v[33:34]
	v_mov_b32_e32 v34, v38
	v_mad_u64_u32 v[39:40], null, s20, v43, 0
	v_add_co_u32 v27, s0, v29, v27
	v_mad_u64_u32 v[41:42], null, s21, v41, v[34:35]
	v_mov_b32_e32 v36, v31
	v_add_co_ci_u32_e64 v28, s0, v30, v28, s0
	v_add_co_u32 v31, s0, v29, v32
	v_add_co_ci_u32_e64 v32, s0, v30, v33, s0
	v_mov_b32_e32 v38, v41
	v_mad_u64_u32 v[41:42], null, s20, v45, 0
	v_lshlrev_b64 v[33:34], 4, v[35:36]
	v_mov_b32_e32 v35, v40
	buffer_store_dword v51, off, s[60:63], 0 offset:12 ; 4-byte Folded Spill
	v_add_nc_u32_e32 v60, 0x187, v238
	v_add_nc_u32_e32 v61, 0x1dc, v238
	;; [unrolled: 1-line block ×3, first 2 shown]
	v_mad_u64_u32 v[35:36], null, s21, v43, v[35:36]
	v_lshlrev_b64 v[36:37], 4, v[37:38]
	v_mov_b32_e32 v38, v42
	v_mad_u64_u32 v[43:44], null, s20, v47, 0
	v_add_co_u32 v33, s0, v29, v33
	v_mad_u64_u32 v[45:46], null, s21, v45, v[38:39]
	v_mov_b32_e32 v40, v35
	v_add_co_ci_u32_e64 v34, s0, v30, v34, s0
	v_add_co_u32 v35, s0, v29, v36
	v_add_co_ci_u32_e64 v36, s0, v30, v37, s0
	v_mov_b32_e32 v42, v45
	v_mad_u64_u32 v[45:46], null, s20, v49, 0
	v_lshlrev_b64 v[37:38], 4, v[39:40]
	v_mov_b32_e32 v39, v44
	v_add_nc_u32_e32 v64, 0x44, v238
	v_add_nc_u32_e32 v67, 0x99, v238
	;; [unrolled: 1-line block ×4, first 2 shown]
	v_mad_u64_u32 v[39:40], null, s21, v47, v[39:40]
	v_lshlrev_b64 v[40:41], 4, v[41:42]
	v_mov_b32_e32 v42, v46
	v_mad_u64_u32 v[47:48], null, s20, v51, 0
	v_add_co_u32 v37, s0, v29, v37
	v_mad_u64_u32 v[49:50], null, s21, v49, v[42:43]
	v_mov_b32_e32 v44, v39
	v_add_co_ci_u32_e64 v38, s0, v30, v38, s0
	v_add_co_u32 v39, s0, v29, v40
	v_add_co_ci_u32_e64 v40, s0, v30, v41, s0
	v_mov_b32_e32 v46, v49
	v_mad_u64_u32 v[49:50], null, s20, v53, 0
	v_lshlrev_b64 v[41:42], 4, v[43:44]
	v_mov_b32_e32 v43, v48
	buffer_store_dword v64, off, s[60:63], 0 offset:20 ; 4-byte Folded Spill
	v_add_nc_u32_e32 v70, 0x198, v238
	v_add_nc_u32_e32 v72, 0x1ed, v238
	s_clause 0x1
	global_load_dwordx4 v[86:89], v[0:1], off
	global_load_dwordx4 v[210:213], v[2:3], off
	v_mad_u64_u32 v[43:44], null, s21, v51, v[43:44]
	v_lshlrev_b64 v[44:45], 4, v[45:46]
	v_mov_b32_e32 v46, v50
	v_mad_u64_u32 v[51:52], null, s20, v55, 0
	v_add_co_u32 v41, s0, v29, v41
	v_mad_u64_u32 v[53:54], null, s21, v53, v[46:47]
	v_mov_b32_e32 v48, v43
	v_add_co_ci_u32_e64 v42, s0, v30, v42, s0
	v_add_co_u32 v43, s0, v29, v44
	v_add_co_ci_u32_e64 v44, s0, v30, v45, s0
	v_mov_b32_e32 v50, v53
	v_mad_u64_u32 v[53:54], null, s20, v57, 0
	v_lshlrev_b64 v[45:46], 4, v[47:48]
	v_mov_b32_e32 v47, v52
	s_clause 0x3
	global_load_dwordx4 v[218:221], v[5:6], off
	global_load_dwordx4 v[214:217], v[7:8], off
	;; [unrolled: 1-line block ×4, first 2 shown]
	v_mad_u64_u32 v[47:48], null, s21, v55, v[47:48]
	v_lshlrev_b64 v[48:49], 4, v[49:50]
	v_mov_b32_e32 v50, v54
	v_mad_u64_u32 v[55:56], null, s20, v60, 0
	v_add_co_u32 v45, s0, v29, v45
	v_mad_u64_u32 v[57:58], null, s21, v57, v[50:51]
	v_mov_b32_e32 v52, v47
	v_add_co_ci_u32_e64 v46, s0, v30, v46, s0
	v_add_co_u32 v47, s0, v29, v48
	v_add_co_ci_u32_e64 v48, s0, v30, v49, s0
	v_lshlrev_b64 v[49:50], 4, v[51:52]
	v_mov_b32_e32 v51, v56
	v_mad_u64_u32 v[58:59], null, s20, v61, 0
	v_mov_b32_e32 v54, v57
	v_mad_u64_u32 v[51:52], null, s21, v60, v[51:52]
	v_add_co_u32 v49, s0, v29, v49
	v_lshlrev_b64 v[53:54], 4, v[53:54]
	v_mov_b32_e32 v52, v59
	v_add_co_ci_u32_e64 v50, s0, v30, v50, s0
	v_mov_b32_e32 v56, v51
	v_mad_u64_u32 v[51:52], null, s21, v61, v[52:53]
	v_mad_u64_u32 v[60:61], null, s20, v62, 0
	v_add_co_u32 v52, s0, v29, v53
	v_add_co_ci_u32_e64 v53, s0, v30, v54, s0
	v_mov_b32_e32 v59, v51
	v_lshlrev_b64 v[54:55], 4, v[55:56]
	v_mov_b32_e32 v51, v61
	v_mad_u64_u32 v[56:57], null, s20, v64, 0
	v_mad_u64_u32 v[61:62], null, s21, v62, v[51:52]
	;; [unrolled: 1-line block ×3, first 2 shown]
	v_mov_b32_e32 v51, v57
	v_lshlrev_b64 v[57:58], 4, v[58:59]
	v_add_co_u32 v54, s0, v29, v54
	v_add_co_ci_u32_e64 v55, s0, v30, v55, s0
	v_mad_u64_u32 v[64:65], null, s21, v64, v[51:52]
	v_mov_b32_e32 v51, v63
	v_add_co_u32 v74, s0, v29, v57
	v_mad_u64_u32 v[65:66], null, s20, v68, 0
	v_add_co_ci_u32_e64 v75, s0, v30, v58, s0
	v_lshlrev_b64 v[58:59], 4, v[60:61]
	v_mad_u64_u32 v[60:61], null, s21, v67, v[51:52]
	v_mov_b32_e32 v57, v64
	v_mov_b32_e32 v51, v66
	v_add_co_u32 v58, s0, v29, v58
	v_lshlrev_b64 v[56:57], 4, v[56:57]
	v_mov_b32_e32 v63, v60
	v_mad_u64_u32 v[60:61], null, s21, v68, v[51:52]
	v_mad_u64_u32 v[67:68], null, s20, v70, 0
	v_lshlrev_b64 v[61:62], 4, v[62:63]
	v_mad_u64_u32 v[63:64], null, s20, v69, 0
	v_add_co_ci_u32_e64 v59, s0, v30, v59, s0
	v_add_co_u32 v56, s0, v29, v56
	v_add_co_ci_u32_e64 v57, s0, v30, v57, s0
	v_mov_b32_e32 v66, v60
	v_add_co_u32 v60, s0, v29, v61
	v_mov_b32_e32 v51, v64
	v_add_co_ci_u32_e64 v61, s0, v30, v62, s0
	v_mov_b32_e32 v62, v68
	v_lshlrev_b64 v[64:65], 4, v[65:66]
	v_mad_u64_u32 v[68:69], null, s21, v69, v[51:52]
	v_mad_u64_u32 v[69:70], null, s21, v70, v[62:63]
	;; [unrolled: 1-line block ×3, first 2 shown]
	v_add_nc_u32_e32 v62, 0x242, v238
	v_add_co_u32 v76, s0, v29, v64
	v_add_co_ci_u32_e64 v77, s0, v30, v65, s0
	v_mad_u64_u32 v[65:66], null, s20, v62, 0
	v_mov_b32_e32 v51, v71
	v_mov_b32_e32 v64, v68
	;; [unrolled: 1-line block ×3, first 2 shown]
	v_mad_u64_u32 v[0:1], null, s21, v72, v[51:52]
	v_lshlrev_b64 v[2:3], 4, v[63:64]
	v_mov_b32_e32 v1, v66
	v_mad_u64_u32 v[5:6], null, s21, v62, v[1:2]
	v_mov_b32_e32 v71, v0
	v_lshlrev_b64 v[6:7], 4, v[67:68]
	v_add_co_u32 v62, s0, v29, v2
	v_add_co_ci_u32_e64 v63, s0, v30, v3, s0
	v_mov_b32_e32 v66, v5
	v_lshlrev_b64 v[0:1], 4, v[70:71]
	v_add_co_u32 v5, s0, v29, v6
	v_add_co_ci_u32_e64 v6, s0, v30, v7, s0
	v_lshlrev_b64 v[2:3], 4, v[65:66]
	v_add_co_u32 v7, s0, v29, v0
	v_add_co_ci_u32_e64 v8, s0, v30, v1, s0
	v_add_co_u32 v9, s0, v29, v2
	v_add_co_ci_u32_e64 v10, s0, v30, v3, s0
	s_clause 0x1c
	global_load_dwordx4 v[230:233], v[13:14], off
	global_load_dwordx4 v[90:93], v[15:16], off
	;; [unrolled: 1-line block ×29, first 2 shown]
.LBB0_12:
	s_or_b32 exec_lo, exec_lo, s1
	s_waitcnt vmcnt(28)
	v_add_f64 v[5:6], v[230:231], v[210:211]
	v_add_f64 v[7:8], v[226:227], v[218:219]
	;; [unrolled: 1-line block ×3, first 2 shown]
	v_add_f64 v[12:13], v[220:221], -v[228:229]
	v_add_f64 v[14:15], v[224:225], -v[216:217]
	;; [unrolled: 1-line block ×3, first 2 shown]
	s_waitcnt vmcnt(21)
	v_add_f64 v[20:21], v[206:207], v[202:203]
	v_add_f64 v[22:23], v[198:199], v[194:195]
	s_mov_b32 s14, 0x37e14327
	s_mov_b32 s6, 0x36b3c0b5
	;; [unrolled: 1-line block ×8, first 2 shown]
	v_add_f64 v[24:25], v[190:191], v[186:187]
	v_add_f64 v[26:27], v[196:197], -v[200:201]
	v_add_f64 v[28:29], v[192:193], -v[188:189]
	v_mul_hi_u32 v9, 0xaaaaaaab, v4
	s_waitcnt vmcnt(14)
	v_add_f64 v[32:33], v[178:179], v[174:175]
	v_add_f64 v[34:35], v[170:171], v[166:167]
	s_mov_b32 s8, 0xaaaaaaaa
	v_add_f64 v[18:19], v[7:8], v[5:6]
	v_add_f64 v[46:47], v[5:6], -v[10:11]
	v_add_f64 v[5:6], v[7:8], -v[5:6]
	;; [unrolled: 1-line block ×4, first 2 shown]
	v_add_f64 v[12:13], v[14:15], v[12:13]
	v_add_f64 v[14:15], v[16:17], -v[14:15]
	v_add_f64 v[83:84], v[22:23], v[20:21]
	v_lshrrev_b32_e32 v9, 1, v9
	s_mov_b32 s18, 0xb247c609
	s_mov_b32 s26, 0x5476071b
	;; [unrolled: 1-line block ×4, first 2 shown]
	v_lshl_add_u32 v9, v9, 1, v9
	s_mov_b32 s25, 0x3fd5d0dc
	s_mov_b32 s27, 0x3fe77f67
	;; [unrolled: 1-line block ×5, first 2 shown]
	v_add_f64 v[30:31], v[204:205], -v[208:209]
	v_add_f64 v[36:37], v[162:163], v[158:159]
	s_waitcnt vmcnt(7)
	v_add_f64 v[48:49], v[142:143], v[138:139]
	v_add_f64 v[18:19], v[10:11], v[18:19]
	v_add_f64 v[10:11], v[10:11], -v[7:8]
	v_mul_f64 v[46:47], v[46:47], s[14:15]
	v_mul_f64 v[44:45], v[44:45], s[20:21]
	;; [unrolled: 1-line block ×3, first 2 shown]
	v_add_f64 v[52:53], v[134:135], v[130:131]
	v_add_f64 v[54:55], v[126:127], v[122:123]
	v_add_f64 v[56:57], v[132:133], -v[136:137]
	v_add_f64 v[58:59], v[128:129], -v[124:125]
	;; [unrolled: 1-line block ×3, first 2 shown]
	s_waitcnt vmcnt(0)
	v_add_f64 v[62:63], v[118:119], v[114:115]
	v_add_f64 v[64:65], v[110:111], v[106:107]
	v_sub_nc_u32_e32 v74, v4, v9
	v_add_f64 v[96:97], v[20:21], -v[24:25]
	v_add_f64 v[146:147], v[24:25], -v[22:23]
	;; [unrolled: 1-line block ×3, first 2 shown]
	v_add_f64 v[12:13], v[12:13], v[16:17]
	v_add_f64 v[16:17], v[24:25], v[83:84]
	v_add_f64 v[38:39], v[168:169], -v[172:173]
	v_add_f64 v[40:41], v[164:165], -v[160:161]
	;; [unrolled: 1-line block ×4, first 2 shown]
	v_add_f64 v[85:86], v[86:87], v[18:19]
	v_mul_f64 v[7:8], v[10:11], s[6:7]
	v_fma_f64 v[9:10], v[10:11], s[6:7], v[46:47]
	v_fma_f64 v[24:25], v[14:15], s[18:19], v[44:45]
	v_fma_f64 v[44:45], v[50:51], s[22:23], -v[44:45]
	v_fma_f64 v[14:15], v[14:15], s[24:25], -v[94:95]
	;; [unrolled: 1-line block ×3, first 2 shown]
	v_add_f64 v[22:23], v[34:35], v[32:33]
	s_mov_b32 s16, 0x37c3f68c
	s_mov_b32 s17, 0xbfdc38aa
	v_add_f64 v[75:76], v[102:103], v[98:99]
	v_add_f64 v[77:78], v[108:109], -v[112:113]
	v_add_f64 v[79:80], v[104:105], -v[100:101]
	;; [unrolled: 1-line block ×3, first 2 shown]
	v_add_f64 v[148:149], v[28:29], v[26:27]
	v_add_f64 v[26:27], v[26:27], -v[30:31]
	v_add_f64 v[152:153], v[32:33], -v[36:37]
	;; [unrolled: 1-line block ×4, first 2 shown]
	v_add_f64 v[34:35], v[52:53], v[48:49]
	v_add_f64 v[50:51], v[48:49], -v[54:55]
	v_add_f64 v[83:84], v[54:55], -v[52:53]
	v_fma_f64 v[18:19], v[18:19], s[8:9], v[85:86]
	v_fma_f64 v[4:5], v[5:6], s[26:27], -v[7:8]
	v_add_f64 v[94:95], v[58:59], v[56:57]
	v_add_f64 v[182:183], v[58:59], -v[56:57]
	v_add_f64 v[48:49], v[52:53], -v[48:49]
	;; [unrolled: 1-line block ×3, first 2 shown]
	v_mul_f64 v[56:57], v[96:97], s[14:15]
	v_mul_f64 v[96:97], v[150:151], s[20:21]
	v_add_f64 v[150:151], v[90:91], v[16:17]
	v_fma_f64 v[24:25], v[12:13], s[16:17], v[24:25]
	v_fma_f64 v[44:45], v[12:13], s[16:17], v[44:45]
	;; [unrolled: 1-line block ×3, first 2 shown]
	v_add_f64 v[28:29], v[30:31], -v[28:29]
	v_add_f64 v[156:157], v[40:41], v[38:39]
	v_add_f64 v[6:7], v[40:41], -v[38:39]
	v_add_f64 v[38:39], v[38:39], -v[42:43]
	v_add_f64 v[22:23], v[36:37], v[22:23]
	v_add_f64 v[90:91], v[75:76], -v[64:65]
	v_add_f64 v[184:185], v[79:80], v[77:78]
	v_add_f64 v[241:242], v[79:80], -v[77:78]
	v_mul_f64 v[36:37], v[26:27], s[22:23]
	v_add_f64 v[77:78], v[77:78], -v[81:82]
	v_add_f64 v[8:9], v[9:10], v[18:19]
	v_add_f64 v[13:14], v[46:47], v[18:19]
	;; [unrolled: 1-line block ×4, first 2 shown]
	v_add_f64 v[46:47], v[62:63], -v[75:76]
	v_add_f64 v[34:35], v[54:55], v[34:35]
	v_mul_f64 v[243:244], v[146:147], s[6:7]
	v_add_f64 v[40:41], v[42:43], -v[40:41]
	v_fma_f64 v[15:16], v[16:17], s[8:9], v[150:151]
	v_add_f64 v[30:31], v[148:149], v[30:31]
	v_fma_f64 v[146:147], v[146:147], s[6:7], v[56:57]
	v_mul_f64 v[148:149], v[152:153], s[14:15]
	v_fma_f64 v[54:55], v[28:29], s[18:19], v[96:97]
	v_mul_f64 v[249:250], v[154:155], s[6:7]
	v_mul_f64 v[6:7], v[6:7], s[20:21]
	v_fma_f64 v[26:27], v[26:27], s[22:23], -v[96:97]
	v_add_f64 v[96:97], v[70:71], v[22:23]
	v_mul_u32_u24_e32 v74, 0x253, v74
	v_add_f64 v[58:59], v[60:61], -v[58:59]
	v_add_f64 v[79:80], v[81:82], -v[79:80]
	v_mul_f64 v[50:51], v[50:51], s[14:15]
	v_mul_f64 v[70:71], v[182:183], s[20:21]
	v_add_f64 v[152:153], v[24:25], v[8:9]
	v_add_f64 v[245:246], v[11:12], v[13:14]
	v_add_f64 v[247:248], v[4:5], -v[44:45]
	v_add_f64 v[17:18], v[75:76], v[18:19]
	v_mul_f64 v[75:76], v[38:39], s[22:23]
	v_lshlrev_b32_e32 v87, 3, v74
	v_fma_f64 v[28:29], v[28:29], s[24:25], -v[36:37]
	v_mul_f64 v[36:37], v[83:84], s[6:7]
	v_mul_f64 v[182:183], v[52:53], s[22:23]
	v_add_f64 v[4:5], v[44:45], v[4:5]
	v_add_nc_u32_e32 v240, 0, v87
	v_add_f64 v[44:45], v[66:67], v[34:35]
	v_mul_f64 v[46:47], v[46:47], s[14:15]
	v_add_f64 v[8:9], v[8:9], -v[24:25]
	v_add_f64 v[24:25], v[64:65], -v[62:63]
	v_mad_u32_u24 v74, v238, 56, v240
	v_mul_f64 v[62:63], v[90:91], s[6:7]
	v_mul_f64 v[64:65], v[77:78], s[22:23]
	v_fma_f64 v[56:57], v[20:21], s[28:29], -v[56:57]
	v_fma_f64 v[19:20], v[20:21], s[26:27], -v[243:244]
	v_add_f64 v[10:11], v[13:14], -v[11:12]
	v_mul_f64 v[12:13], v[241:242], s[20:21]
	v_add_f64 v[66:67], v[146:147], v[15:16]
	ds_write2_b64 v74, v[85:86], v[152:153] offset1:1
	ds_write2_b64 v74, v[245:246], v[247:248] offset0:2 offset1:3
	v_add_f64 v[42:43], v[156:157], v[42:43]
	v_add_f64 v[0:1], v[0:1], v[17:18]
	v_fma_f64 v[21:22], v[22:23], s[8:9], v[96:97]
	v_fma_f64 v[85:86], v[40:41], s[18:19], v[6:7]
	;; [unrolled: 1-line block ×3, first 2 shown]
	v_fma_f64 v[6:7], v[38:39], s[22:23], -v[6:7]
	v_fma_f64 v[38:39], v[40:41], s[24:25], -v[75:76]
	;; [unrolled: 1-line block ×4, first 2 shown]
	v_fma_f64 v[54:55], v[30:31], s[16:17], v[54:55]
	v_add_f64 v[60:61], v[94:95], v[60:61]
	v_fma_f64 v[34:35], v[34:35], s[8:9], v[44:45]
	v_fma_f64 v[75:76], v[83:84], s[6:7], v[50:51]
	;; [unrolled: 1-line block ×3, first 2 shown]
	v_fma_f64 v[36:37], v[48:49], s[26:27], -v[36:37]
	v_fma_f64 v[48:49], v[48:49], s[28:29], -v[50:51]
	;; [unrolled: 1-line block ×4, first 2 shown]
	v_add_f64 v[58:59], v[184:185], v[81:82]
	v_fma_f64 v[70:71], v[90:91], s[6:7], v[46:47]
	v_fma_f64 v[62:63], v[24:25], s[26:27], -v[62:63]
	v_fma_f64 v[23:24], v[24:25], s[28:29], -v[46:47]
	;; [unrolled: 1-line block ×3, first 2 shown]
	v_fma_f64 v[17:18], v[17:18], s[8:9], v[0:1]
	v_fma_f64 v[81:82], v[79:80], s[18:19], v[12:13]
	v_fma_f64 v[12:13], v[77:78], s[22:23], -v[12:13]
	v_fma_f64 v[25:26], v[30:31], s[16:17], v[26:27]
	v_fma_f64 v[27:28], v[30:31], s[16:17], v[28:29]
	v_add_f64 v[29:30], v[56:57], v[15:16]
	v_add_f64 v[14:15], v[19:20], v[15:16]
	v_fma_f64 v[19:20], v[42:43], s[16:17], v[85:86]
	v_add_f64 v[56:57], v[146:147], v[21:22]
	v_fma_f64 v[6:7], v[42:43], s[16:17], v[6:7]
	v_fma_f64 v[38:39], v[42:43], s[16:17], v[38:39]
	v_add_f64 v[40:41], v[40:41], v[21:22]
	v_add_f64 v[21:22], v[32:33], v[21:22]
	;; [unrolled: 1-line block ×5, first 2 shown]
	v_fma_f64 v[48:49], v[60:61], s[16:17], v[50:51]
	v_fma_f64 v[50:51], v[60:61], s[16:17], v[52:53]
	;; [unrolled: 1-line block ×3, first 2 shown]
	v_mov_b32_e32 v76, v255
	v_mad_i32_i24 v90, v251, 56, v240
	ds_write2_b64 v74, v[4:5], v[10:11] offset0:4 offset1:5
	v_add_f64 v[52:53], v[70:71], v[17:18]
	v_add_f64 v[62:63], v[62:63], v[17:18]
	;; [unrolled: 1-line block ×3, first 2 shown]
	v_fma_f64 v[23:24], v[58:59], s[16:17], v[46:47]
	v_add_f64 v[46:47], v[54:55], v[66:67]
	v_fma_f64 v[60:61], v[58:59], s[16:17], v[81:82]
	v_fma_f64 v[12:13], v[58:59], s[16:17], v[12:13]
	v_add_f64 v[58:59], v[27:28], v[29:30]
	v_add_f64 v[64:65], v[14:15], -v[25:26]
	v_add_f64 v[14:15], v[25:26], v[14:15]
	v_add_f64 v[25:26], v[29:30], -v[27:28]
	v_add_f64 v[27:28], v[66:67], -v[54:55]
	v_add_f64 v[29:30], v[19:20], v[56:57]
	v_add_f64 v[54:55], v[38:39], v[40:41]
	v_add_f64 v[66:67], v[21:22], -v[6:7]
	v_add_f64 v[6:7], v[6:7], v[21:22]
	v_add_f64 v[21:22], v[40:41], -v[38:39]
	v_add_f64 v[18:19], v[56:57], -v[19:20]
	v_mad_i32_i24 v71, v76, 56, v240
	ds_write_b64 v74, v[8:9] offset:48
	ds_write2_b64 v71, v[150:151], v[46:47] offset1:1
	ds_write2_b64 v71, v[58:59], v[64:65] offset0:2 offset1:3
	ds_write2_b64 v71, v[14:15], v[25:26] offset0:4 offset1:5
	ds_write_b64 v71, v[27:28] offset:48
	ds_write2_b64 v90, v[96:97], v[29:30] offset1:1
	buffer_load_dword v8, off, s[60:63], 0 offset:12 ; 4-byte Folded Reload
	ds_write2_b64 v90, v[54:55], v[66:67] offset0:2 offset1:3
	ds_write2_b64 v90, v[6:7], v[21:22] offset0:4 offset1:5
	ds_write_b64 v90, v[18:19] offset:48
	buffer_load_dword v6, off, s[60:63], 0 offset:20 ; 4-byte Folded Reload
	v_add_f64 v[38:39], v[42:43], v[31:32]
	v_add_f64 v[40:41], v[48:49], v[33:34]
	v_add_f64 v[56:57], v[36:37], -v[50:51]
	v_add_f64 v[35:36], v[50:51], v[36:37]
	v_add_f64 v[33:34], v[33:34], -v[48:49]
	v_add_f64 v[31:32], v[31:32], -v[42:43]
	v_add_f64 v[42:43], v[60:61], v[52:53]
	v_add_f64 v[48:49], v[23:24], v[16:17]
	v_add_f64 v[50:51], v[62:63], -v[12:13]
	v_add_f64 v[12:13], v[12:13], v[62:63]
	v_add_f64 v[16:17], v[16:17], -v[23:24]
	v_add_f64 v[4:5], v[52:53], -v[60:61]
	v_cmp_eq_u32_e64 s0, 0, v238
                                        ; implicit-def: $vgpr246_vgpr247
                                        ; implicit-def: $vgpr10_vgpr11
                                        ; implicit-def: $vgpr14_vgpr15
                                        ; implicit-def: $vgpr18_vgpr19
                                        ; implicit-def: $vgpr22_vgpr23
                                        ; implicit-def: $vgpr26_vgpr27
	s_waitcnt vmcnt(1)
	v_mad_i32_i24 v75, v8, 56, v240
	s_waitcnt vmcnt(0)
	v_mad_i32_i24 v70, v6, 56, v240
	ds_write2_b64 v75, v[44:45], v[38:39] offset1:1
	ds_write2_b64 v75, v[40:41], v[56:57] offset0:2 offset1:3
	ds_write2_b64 v75, v[35:36], v[33:34] offset0:4 offset1:5
	ds_write_b64 v75, v[31:32] offset:48
	ds_write2_b64 v70, v[0:1], v[42:43] offset1:1
	ds_write2_b64 v70, v[48:49], v[50:51] offset0:2 offset1:3
	v_lshlrev_b32_e32 v0, 3, v238
	s_load_dwordx2 s[4:5], s[4:5], 0x0
                                        ; implicit-def: $vgpr30_vgpr31
                                        ; implicit-def: $vgpr34_vgpr35
	ds_write2_b64 v70, v[12:13], v[16:17] offset0:4 offset1:5
	ds_write_b64 v70, v[4:5] offset:48
	v_add3_u32 v239, 0, v0, v87
	v_add_nc_u32_e32 v249, v240, v0
	v_lshl_add_u32 v0, v76, 3, v240
	s_waitcnt lgkmcnt(0)
	s_waitcnt_vscnt null, 0x0
	buffer_store_dword v87, off, s[60:63], 0 offset:24 ; 4-byte Folded Spill
	s_barrier
	s_waitcnt_vscnt null, 0x0
	buffer_gl0_inv
	buffer_store_dword v0, off, s[60:63], 0 ; 4-byte Folded Spill
	v_add_nc_u32_e32 v248, 0x400, v239
	v_add_nc_u32_e32 v241, 0x800, v239
	;; [unrolled: 1-line block ×3, first 2 shown]
	ds_read_b64 v[244:245], v249
	ds_read_b64 v[242:243], v0
	ds_read2_b64 v[182:185], v239 offset0:35 offset1:52
	ds_read2_b64 v[154:157], v239 offset0:70 offset1:87
	;; [unrolled: 1-line block ×16, first 2 shown]
	s_and_saveexec_b32 s1, s0
	s_cbranch_execz .LBB0_14
; %bb.13:
	v_add_nc_u32_e32 v0, 0x400, v240
	v_add_nc_u32_e32 v1, 0x800, v240
	;; [unrolled: 1-line block ×3, first 2 shown]
	ds_read2_b64 v[4:7], v240 offset0:34 offset1:69
	ds_read2_b64 v[32:35], v240 offset0:104 offset1:139
	;; [unrolled: 1-line block ×8, first 2 shown]
	ds_read_b64 v[246:247], v240 offset:4752
.LBB0_14:
	s_or_b32 exec_lo, exec_lo, s1
	v_add_f64 v[0:1], v[232:233], v[212:213]
	v_add_f64 v[212:213], v[228:229], v[220:221]
	v_add_f64 v[218:219], v[218:219], -v[226:227]
	v_add_f64 v[216:217], v[224:225], v[216:217]
	v_add_f64 v[214:215], v[222:223], -v[214:215]
	v_add_f64 v[158:159], v[162:163], -v[158:159]
	;; [unrolled: 1-line block ×3, first 2 shown]
	v_add_f64 v[204:205], v[208:209], v[204:205]
	v_add_f64 v[196:197], v[200:201], v[196:197]
	v_add_f64 v[202:203], v[202:203], -v[206:207]
	v_add_f64 v[194:195], v[194:195], -v[198:199]
	;; [unrolled: 1-line block ×3, first 2 shown]
	v_add_f64 v[176:177], v[180:181], v[176:177]
	v_add_f64 v[168:169], v[172:173], v[168:169]
	v_add_f64 v[130:131], v[130:131], -v[134:135]
	v_add_f64 v[108:109], v[112:113], v[108:109]
	v_add_f64 v[100:101], v[104:105], v[100:101]
	v_add_f64 v[98:99], v[102:103], -v[98:99]
	v_add_f64 v[188:189], v[192:193], v[188:189]
	v_add_f64 v[122:123], v[126:127], -v[122:123]
	v_add_f64 v[116:117], v[120:121], v[116:117]
	v_add_f64 v[140:141], v[144:145], v[140:141]
	;; [unrolled: 1-line block ×4, first 2 shown]
	v_add_f64 v[102:103], v[212:213], -v[0:1]
	v_add_f64 v[0:1], v[0:1], -v[216:217]
	;; [unrolled: 1-line block ×6, first 2 shown]
	v_add_f64 v[126:127], v[196:197], v[204:205]
	v_add_f64 v[160:161], v[164:165], v[160:161]
	v_add_f64 v[114:115], v[114:115], -v[118:119]
	v_add_f64 v[106:107], v[106:107], -v[110:111]
	v_add_f64 v[110:111], v[214:215], v[218:219]
	v_add_f64 v[118:119], v[210:211], -v[214:215]
	v_add_f64 v[144:145], v[186:187], v[194:195]
	v_add_f64 v[170:171], v[194:195], -v[202:203]
	v_add_f64 v[172:173], v[168:169], v[176:177]
	v_add_f64 v[174:175], v[174:175], -v[178:179]
	v_add_f64 v[138:139], v[138:139], -v[142:143]
	;; [unrolled: 1-line block ×4, first 2 shown]
	v_add_f64 v[124:125], v[128:129], v[124:125]
	v_add_f64 v[190:191], v[132:133], v[140:141]
	;; [unrolled: 1-line block ×3, first 2 shown]
	v_add_f64 v[162:163], v[186:187], -v[194:195]
	v_mul_f64 v[0:1], v[0:1], s[14:15]
	v_mul_f64 v[194:195], v[104:105], s[6:7]
	;; [unrolled: 1-line block ×3, first 2 shown]
	v_add_f64 v[200:201], v[108:109], v[116:117]
	v_add_f64 v[164:165], v[202:203], -v[186:187]
	v_add_f64 v[126:127], v[188:189], v[126:127]
	v_mul_f64 v[188:189], v[120:121], s[22:23]
	v_add_f64 v[178:179], v[168:169], -v[176:177]
	v_add_f64 v[176:177], v[176:177], -v[160:161]
	;; [unrolled: 1-line block ×4, first 2 shown]
	v_add_f64 v[110:111], v[110:111], v[210:211]
	v_add_f64 v[128:129], v[196:197], -v[204:205]
	v_add_f64 v[160:161], v[160:161], v[172:173]
	v_add_f64 v[180:181], v[158:159], v[166:167]
	v_add_f64 v[166:167], v[166:167], -v[174:175]
	v_add_f64 v[192:193], v[132:133], -v[140:141]
	v_mul_f64 v[210:211], v[142:143], s[6:7]
	v_add_f64 v[140:141], v[140:141], -v[124:125]
	v_add_f64 v[132:133], v[124:125], -v[132:133]
	v_add_f64 v[88:89], v[88:89], v[134:135]
	v_add_f64 v[198:199], v[122:123], -v[130:131]
	v_fma_f64 v[104:105], v[104:105], s[6:7], v[0:1]
	v_fma_f64 v[0:1], v[102:103], s[28:29], -v[0:1]
	v_fma_f64 v[172:173], v[118:119], s[18:19], v[112:113]
	v_fma_f64 v[112:113], v[120:121], s[22:23], -v[112:113]
	v_fma_f64 v[102:103], v[102:103], s[26:27], -v[194:195]
	v_add_f64 v[92:93], v[92:93], v[126:127]
	v_fma_f64 v[118:119], v[118:119], s[24:25], -v[188:189]
	v_add_f64 v[124:125], v[124:125], v[190:191]
	v_add_f64 v[196:197], v[122:123], v[130:131]
	v_add_f64 v[130:131], v[130:131], -v[138:139]
	v_add_f64 v[204:205], v[108:109], -v[116:117]
	;; [unrolled: 1-line block ×5, first 2 shown]
	v_add_f64 v[100:101], v[100:101], v[200:201]
	v_add_f64 v[206:207], v[98:99], v[106:107]
	v_add_f64 v[106:107], v[106:107], -v[114:115]
	v_mul_f64 v[136:137], v[136:137], s[14:15]
	v_add_f64 v[158:159], v[174:175], -v[158:159]
	v_mul_f64 v[176:177], v[176:177], s[14:15]
	v_fma_f64 v[120:121], v[134:135], s[8:9], v[88:89]
	v_add_f64 v[134:135], v[144:145], v[202:203]
	v_mul_f64 v[144:145], v[162:163], s[20:21]
	v_mul_f64 v[162:163], v[170:171], s[22:23]
	;; [unrolled: 1-line block ×3, first 2 shown]
	v_add_f64 v[72:73], v[72:73], v[160:161]
	v_fma_f64 v[112:113], v[110:111], s[16:17], v[112:113]
	v_add_f64 v[174:175], v[180:181], v[174:175]
	v_mul_f64 v[180:181], v[168:169], s[6:7]
	v_mul_f64 v[188:189], v[166:167], s[22:23]
	v_fma_f64 v[190:191], v[128:129], s[26:27], -v[210:211]
	v_fma_f64 v[172:173], v[110:111], s[16:17], v[172:173]
	v_fma_f64 v[126:127], v[126:127], s[8:9], v[92:93]
	;; [unrolled: 1-line block ×3, first 2 shown]
	v_add_f64 v[122:123], v[138:139], -v[122:123]
	v_mul_f64 v[118:119], v[140:141], s[14:15]
	v_mul_f64 v[140:141], v[198:199], s[20:21]
	v_add_f64 v[68:69], v[68:69], v[124:125]
	v_mul_f64 v[194:195], v[130:131], s[22:23]
	v_add_f64 v[98:99], v[114:115], -v[98:99]
	v_mul_f64 v[116:117], v[116:117], s[14:15]
	v_mul_f64 v[198:199], v[108:109], s[6:7]
	v_add_f64 v[102:103], v[102:103], v[120:121]
	v_add_f64 v[0:1], v[0:1], v[120:121]
	;; [unrolled: 1-line block ×3, first 2 shown]
	v_mul_f64 v[120:121], v[132:133], s[6:7]
	v_mul_f64 v[200:201], v[208:209], s[20:21]
	v_add_f64 v[2:3], v[2:3], v[100:101]
	v_mul_f64 v[202:203], v[106:107], s[22:23]
	v_fma_f64 v[142:143], v[142:143], s[6:7], v[136:137]
	v_fma_f64 v[128:129], v[128:129], s[28:29], -v[136:137]
	v_fma_f64 v[136:137], v[164:165], s[18:19], v[144:145]
	v_fma_f64 v[144:145], v[170:171], s[22:23], -v[144:145]
	v_fma_f64 v[162:163], v[164:165], s[24:25], -v[162:163]
	v_fma_f64 v[164:165], v[168:169], s[6:7], v[176:177]
	v_fma_f64 v[160:161], v[160:161], s[8:9], v[72:73]
	v_fma_f64 v[168:169], v[178:179], s[26:27], -v[180:181]
	v_add_f64 v[170:171], v[190:191], v[126:127]
	v_fma_f64 v[166:167], v[166:167], s[22:23], -v[186:187]
	v_add_f64 v[138:139], v[196:197], v[138:139]
	v_fma_f64 v[124:125], v[124:125], s[8:9], v[68:69]
	v_fma_f64 v[132:133], v[132:133], s[6:7], v[118:119]
	v_fma_f64 v[118:119], v[192:193], s[28:29], -v[118:119]
	v_fma_f64 v[130:131], v[130:131], s[22:23], -v[140:141]
	v_add_f64 v[208:209], v[112:113], v[102:103]
	v_add_f64 v[102:103], v[102:103], -v[112:113]
	v_fma_f64 v[112:113], v[158:159], s[18:19], v[186:187]
	v_add_f64 v[190:191], v[0:1], -v[110:111]
	v_add_f64 v[110:111], v[110:111], v[0:1]
	v_fma_f64 v[0:1], v[178:179], s[28:29], -v[176:177]
	v_fma_f64 v[158:159], v[158:159], s[24:25], -v[188:189]
	;; [unrolled: 1-line block ×3, first 2 shown]
	v_fma_f64 v[176:177], v[122:123], s[18:19], v[140:141]
	v_fma_f64 v[122:123], v[122:123], s[24:25], -v[194:195]
	v_add_f64 v[114:115], v[206:207], v[114:115]
	v_fma_f64 v[100:101], v[100:101], s[8:9], v[2:3]
	v_fma_f64 v[108:109], v[108:109], s[6:7], v[116:117]
	v_fma_f64 v[140:141], v[204:205], s[26:27], -v[198:199]
	v_fma_f64 v[116:117], v[204:205], s[28:29], -v[116:117]
	v_fma_f64 v[178:179], v[98:99], s[18:19], v[200:201]
	v_fma_f64 v[98:99], v[98:99], s[24:25], -v[202:203]
	v_fma_f64 v[106:107], v[106:107], s[22:23], -v[200:201]
	v_add_f64 v[142:143], v[142:143], v[126:127]
	v_add_f64 v[126:127], v[128:129], v[126:127]
	v_fma_f64 v[128:129], v[134:135], s[16:17], v[136:137]
	v_fma_f64 v[136:137], v[134:135], s[16:17], v[162:163]
	;; [unrolled: 1-line block ×3, first 2 shown]
	v_add_f64 v[144:145], v[164:165], v[160:161]
	v_fma_f64 v[112:113], v[174:175], s[16:17], v[112:113]
	v_add_f64 v[162:163], v[168:169], v[160:161]
	v_add_f64 v[132:133], v[132:133], v[124:125]
	;; [unrolled: 1-line block ×3, first 2 shown]
	v_fma_f64 v[158:159], v[174:175], s[16:17], v[158:159]
	v_fma_f64 v[160:161], v[174:175], s[16:17], v[166:167]
	v_add_f64 v[120:121], v[120:121], v[124:125]
	v_add_f64 v[118:119], v[118:119], v[124:125]
	v_fma_f64 v[124:125], v[138:139], s[16:17], v[176:177]
	v_fma_f64 v[122:123], v[138:139], s[16:17], v[122:123]
	;; [unrolled: 1-line block ×3, first 2 shown]
	v_add_f64 v[108:109], v[108:109], v[100:101]
	v_add_f64 v[138:139], v[140:141], v[100:101]
	;; [unrolled: 1-line block ×3, first 2 shown]
	v_fma_f64 v[116:117], v[114:115], s[16:17], v[178:179]
	v_fma_f64 v[98:99], v[114:115], s[16:17], v[98:99]
	;; [unrolled: 1-line block ×3, first 2 shown]
	v_add_f64 v[180:181], v[104:105], -v[172:173]
	v_add_f64 v[104:105], v[172:173], v[104:105]
	v_add_f64 v[114:115], v[142:143], -v[128:129]
	v_add_f64 v[140:141], v[126:127], -v[136:137]
	v_add_f64 v[164:165], v[134:135], v[170:171]
	v_add_f64 v[134:135], v[170:171], -v[134:135]
	v_add_f64 v[126:127], v[136:137], v[126:127]
	v_add_f64 v[128:129], v[128:129], v[142:143]
	v_add_f64 v[136:137], v[144:145], -v[112:113]
	v_add_f64 v[142:143], v[0:1], -v[158:159]
	v_add_f64 v[166:167], v[160:161], v[162:163]
	v_add_f64 v[160:161], v[162:163], -v[160:161]
	v_add_f64 v[158:159], v[158:159], v[0:1]
	;; [unrolled: 6-line block ×4, first 2 shown]
	v_add_f64 v[0:1], v[116:117], v[108:109]
	buffer_store_dword v251, off, s[60:63], 0 offset:4 ; 4-byte Folded Spill
	s_waitcnt lgkmcnt(0)
	s_waitcnt_vscnt null, 0x0
	s_barrier
	buffer_gl0_inv
	ds_write2_b64 v74, v[88:89], v[180:181] offset1:1
	ds_write2_b64 v74, v[190:191], v[208:209] offset0:2 offset1:3
	ds_write2_b64 v74, v[102:103], v[110:111] offset0:4 offset1:5
	ds_write_b64 v74, v[104:105] offset:48
	ds_write2_b64 v71, v[92:93], v[114:115] offset1:1
	ds_write2_b64 v71, v[140:141], v[164:165] offset0:2 offset1:3
	ds_write2_b64 v71, v[134:135], v[126:127] offset0:4 offset1:5
	ds_write_b64 v71, v[128:129] offset:48
	;; [unrolled: 4-line block ×5, first 2 shown]
	s_waitcnt lgkmcnt(0)
	s_barrier
	buffer_gl0_inv
	ds_read2_b64 v[190:193], v239 offset0:35 offset1:52
	ds_read2_b64 v[186:189], v239 offset0:70 offset1:87
	;; [unrolled: 1-line block ×16, first 2 shown]
	buffer_load_dword v2, off, s[60:63], 0  ; 4-byte Folded Reload
	ds_read_b64 v[210:211], v249
	buffer_store_dword v249, off, s[60:63], 0 offset:28 ; 4-byte Folded Spill
                                        ; implicit-def: $vgpr70_vgpr71
                                        ; implicit-def: $vgpr74_vgpr75
                                        ; implicit-def: $vgpr90_vgpr91
                                        ; implicit-def: $vgpr100_vgpr101
                                        ; implicit-def: $vgpr104_vgpr105
                                        ; implicit-def: $vgpr108_vgpr109
                                        ; implicit-def: $vgpr112_vgpr113
	s_waitcnt vmcnt(0)
	ds_read_b64 v[194:195], v2
                                        ; implicit-def: $vgpr248_vgpr249
	s_and_saveexec_b32 s1, s0
	s_cbranch_execz .LBB0_16
; %bb.15:
	v_add_nc_u32_e32 v68, 0x400, v240
	v_add_nc_u32_e32 v69, 0x800, v240
	;; [unrolled: 1-line block ×3, first 2 shown]
	ds_read2_b64 v[0:3], v240 offset0:34 offset1:69
	ds_read2_b64 v[110:113], v240 offset0:104 offset1:139
	;; [unrolled: 1-line block ×8, first 2 shown]
	ds_read_b64 v[248:249], v240 offset:4752
.LBB0_16:
	s_or_b32 exec_lo, exec_lo, s1
	v_and_b32_e32 v92, 0xff, v238
	v_mov_b32_e32 v250, 8
	s_mov_b32 s6, 0x5d8e7cdc
	s_mov_b32 s14, 0x2a9d6da3
	;; [unrolled: 1-line block ×3, first 2 shown]
	v_mul_lo_u16 v92, v92, 37
	s_mov_b32 s22, 0xeb564b22
	s_mov_b32 s24, 0x923c349f
	;; [unrolled: 1-line block ×4, first 2 shown]
	v_lshrrev_b16 v92, 8, v92
	s_mov_b32 s36, 0xacd6c6b4
	s_mov_b32 s7, 0xbfd71e95
	;; [unrolled: 1-line block ×4, first 2 shown]
	v_sub_nc_u16 v93, v238, v92
	s_mov_b32 s23, 0xbfefdd0d
	s_mov_b32 s25, 0xbfeec746
	;; [unrolled: 1-line block ×4, first 2 shown]
	v_lshrrev_b16 v93, 1, v93
	s_mov_b32 s37, 0xbfc7851a
	s_mov_b32 s8, 0x370991
	;; [unrolled: 1-line block ×4, first 2 shown]
	v_and_b32_e32 v93, 0x7f, v93
	s_mov_b32 s28, 0x3259b75e
	s_mov_b32 s34, 0xc61f0d01
	;; [unrolled: 1-line block ×4, first 2 shown]
	v_add_nc_u16 v92, v93, v92
	s_mov_b32 s42, 0x7faef3
	s_mov_b32 s9, 0x3fedd6d0
	;; [unrolled: 1-line block ×4, first 2 shown]
	v_lshrrev_b16 v92, 2, v92
	s_mov_b32 s29, 0x3fb79ee6
	s_mov_b32 s35, 0xbfd183b1
	;; [unrolled: 1-line block ×4, first 2 shown]
	buffer_store_dword v92, off, s[60:63], 0 offset:556 ; 4-byte Folded Spill
	v_mul_lo_u16 v92, v92, 7
	s_mov_b32 s43, 0xbfef7484
	s_mov_b32 s47, 0x3fe0d888
	;; [unrolled: 1-line block ×4, first 2 shown]
	v_sub_nc_u16 v229, v238, v92
	s_mov_b32 s44, s24
	s_mov_b32 s49, 0x3feca52d
	;; [unrolled: 1-line block ×4, first 2 shown]
	v_lshlrev_b32_sdwa v226, v250, v229 dst_sel:DWORD dst_unused:UNUSED_PAD src0_sel:DWORD src1_sel:BYTE_0
	s_mov_b32 s50, s6
	s_mov_b32 s53, 0x3fc7851a
	;; [unrolled: 1-line block ×3, first 2 shown]
	s_clause 0x3
	global_load_dwordx4 v[198:201], v226, s[12:13] offset:48
	global_load_dwordx4 v[202:205], v226, s[12:13] offset:32
	;; [unrolled: 1-line block ×3, first 2 shown]
	global_load_dwordx4 v[212:215], v226, s[12:13]
	s_mov_b32 s55, 0x3fe58eea
	s_mov_b32 s54, s14
	;; [unrolled: 1-line block ×6, first 2 shown]
	s_waitcnt vmcnt(0) lgkmcnt(17)
	v_mul_f64 v[92:93], v[190:191], v[214:215]
	v_fma_f64 v[196:197], v[182:183], v[212:213], v[92:93]
	v_mul_f64 v[92:93], v[182:183], v[214:215]
	s_waitcnt lgkmcnt(16)
	v_mul_f64 v[182:183], v[186:187], v[208:209]
	v_fma_f64 v[190:191], v[190:191], v[212:213], -v[92:93]
	v_fma_f64 v[92:93], v[154:155], v[206:207], v[182:183]
	v_mul_f64 v[154:155], v[154:155], v[208:209]
	v_fma_f64 v[186:187], v[186:187], v[206:207], -v[154:155]
	s_waitcnt lgkmcnt(15)
	v_mul_f64 v[154:155], v[178:179], v[204:205]
	v_fma_f64 v[182:183], v[150:151], v[202:203], v[154:155]
	v_mul_f64 v[150:151], v[150:151], v[204:205]
	v_fma_f64 v[240:241], v[178:179], v[202:203], -v[150:151]
	s_waitcnt lgkmcnt(14)
	v_mul_f64 v[150:151], v[174:175], v[200:201]
	v_fma_f64 v[178:179], v[146:147], v[198:199], v[150:151]
	v_mul_f64 v[146:147], v[146:147], v[200:201]
	v_fma_f64 v[227:228], v[174:175], v[198:199], -v[146:147]
	s_clause 0x3
	global_load_dwordx4 v[230:233], v226, s[12:13] offset:112
	global_load_dwordx4 v[251:254], v226, s[12:13] offset:96
	;; [unrolled: 1-line block ×4, first 2 shown]
	s_waitcnt vmcnt(0) lgkmcnt(13)
	v_mul_f64 v[146:147], v[170:171], v[200:201]
	v_fma_f64 v[220:221], v[94:95], v[198:199], v[146:147]
	v_mul_f64 v[94:95], v[94:95], v[200:201]
	v_fma_f64 v[224:225], v[170:171], v[198:199], -v[94:95]
	s_waitcnt lgkmcnt(12)
	v_mul_f64 v[94:95], v[166:167], v[208:209]
	v_fma_f64 v[218:219], v[84:85], v[206:207], v[94:95]
	v_mul_f64 v[84:85], v[84:85], v[208:209]
	v_fma_f64 v[84:85], v[166:167], v[206:207], -v[84:85]
	buffer_store_dword v84, off, s[60:63], 0 offset:560 ; 4-byte Folded Spill
	buffer_store_dword v85, off, s[60:63], 0 offset:564 ; 4-byte Folded Spill
	s_waitcnt lgkmcnt(11)
	v_mul_f64 v[84:85], v[162:163], v[253:254]
	v_fma_f64 v[94:95], v[80:81], v[251:252], v[84:85]
	v_mul_f64 v[80:81], v[80:81], v[253:254]
	v_fma_f64 v[216:217], v[162:163], v[251:252], -v[80:81]
	s_waitcnt lgkmcnt(10)
	v_mul_f64 v[80:81], v[158:159], v[232:233]
	v_fma_f64 v[162:163], v[76:77], v[230:231], v[80:81]
	v_mul_f64 v[76:77], v[76:77], v[232:233]
	v_fma_f64 v[222:223], v[158:159], v[230:231], -v[76:77]
	s_clause 0x3
	global_load_dwordx4 v[230:233], v226, s[12:13] offset:176
	global_load_dwordx4 v[251:254], v226, s[12:13] offset:160
	;; [unrolled: 1-line block ×4, first 2 shown]
	s_waitcnt vmcnt(0) lgkmcnt(9)
	v_mul_f64 v[76:77], v[142:143], v[204:205]
	v_fma_f64 v[166:167], v[64:65], v[202:203], v[76:77]
	v_mul_f64 v[64:65], v[64:65], v[204:205]
	buffer_store_dword v166, off, s[60:63], 0 offset:408 ; 4-byte Folded Spill
	buffer_store_dword v167, off, s[60:63], 0 offset:412 ; 4-byte Folded Spill
	v_fma_f64 v[212:213], v[142:143], v[202:203], -v[64:65]
	s_waitcnt lgkmcnt(8)
	v_mul_f64 v[64:65], v[138:139], v[200:201]
	v_fma_f64 v[214:215], v[60:61], v[198:199], v[64:65]
	v_mul_f64 v[60:61], v[60:61], v[200:201]
	s_waitcnt lgkmcnt(7)
	v_mul_f64 v[64:65], v[134:135], v[253:254]
	v_fma_f64 v[138:139], v[138:139], v[198:199], -v[60:61]
	v_fma_f64 v[60:61], v[56:57], v[251:252], v[64:65]
	v_mul_f64 v[56:57], v[56:57], v[253:254]
	s_waitcnt lgkmcnt(6)
	v_mul_f64 v[64:65], v[130:131], v[232:233]
	v_fma_f64 v[142:143], v[134:135], v[251:252], -v[56:57]
	v_fma_f64 v[134:135], v[52:53], v[230:231], v[64:65]
	v_mul_f64 v[52:53], v[52:53], v[232:233]
	v_fma_f64 v[170:171], v[130:131], v[230:231], -v[52:53]
	s_clause 0x3
	global_load_dwordx4 v[251:254], v226, s[12:13] offset:240
	global_load_dwordx4 v[198:201], v226, s[12:13] offset:224
	;; [unrolled: 1-line block ×4, first 2 shown]
	s_waitcnt vmcnt(0) lgkmcnt(5)
	v_mul_f64 v[64:65], v[126:127], v[232:233]
	v_fma_f64 v[150:151], v[48:49], v[230:231], v[64:65]
	v_mul_f64 v[48:49], v[48:49], v[232:233]
	v_fma_f64 v[232:233], v[126:127], v[230:231], -v[48:49]
	s_waitcnt lgkmcnt(4)
	v_mul_f64 v[48:49], v[122:123], v[204:205]
	v_mov_b32_e32 v127, v255
	v_fma_f64 v[154:155], v[44:45], v[202:203], v[48:49]
	v_mul_f64 v[44:45], v[44:45], v[204:205]
	v_fma_f64 v[52:53], v[122:123], v[202:203], -v[44:45]
	s_waitcnt lgkmcnt(3)
	v_mul_f64 v[44:45], v[118:119], v[200:201]
	v_fma_f64 v[230:231], v[40:41], v[198:199], v[44:45]
	v_mul_f64 v[40:41], v[40:41], v[200:201]
	v_fma_f64 v[48:49], v[118:119], v[198:199], -v[40:41]
	s_waitcnt lgkmcnt(2)
	v_mul_f64 v[40:41], v[114:115], v[253:254]
	v_fma_f64 v[40:41], v[36:37], v[251:252], v[40:41]
	v_mul_f64 v[36:37], v[36:37], v[253:254]
	v_fma_f64 v[44:45], v[114:115], v[251:252], -v[36:37]
	v_and_b32_e32 v36, 0xff, v127
	v_mul_lo_u16 v36, v36, 37
	v_lshrrev_b16 v36, 8, v36
	v_sub_nc_u16 v37, v127, v36
	v_lshrrev_b16 v37, 1, v37
	v_and_b32_e32 v37, 0x7f, v37
	v_add_nc_u16 v36, v37, v36
	v_lshrrev_b16 v115, 2, v36
	v_mul_lo_u16 v36, v115, 7
	v_sub_nc_u16 v126, v127, v36
	v_lshlrev_b32_sdwa v114, v250, v126 dst_sel:DWORD dst_unused:UNUSED_PAD src0_sel:DWORD src1_sel:BYTE_0
	s_clause 0x3
	global_load_dwordx4 v[198:201], v114, s[12:13] offset:48
	global_load_dwordx4 v[202:205], v114, s[12:13] offset:32
	;; [unrolled: 1-line block ×3, first 2 shown]
	global_load_dwordx4 v[206:209], v114, s[12:13]
	s_waitcnt vmcnt(0)
	v_mul_f64 v[36:37], v[192:193], v[208:209]
	v_fma_f64 v[146:147], v[184:185], v[206:207], v[36:37]
	v_mul_f64 v[36:37], v[184:185], v[208:209]
	v_fma_f64 v[122:123], v[192:193], v[206:207], -v[36:37]
	v_mul_f64 v[36:37], v[188:189], v[253:254]
	v_fma_f64 v[174:175], v[156:157], v[251:252], v[36:37]
	v_mul_f64 v[36:37], v[156:157], v[253:254]
	v_fma_f64 v[184:185], v[188:189], v[251:252], -v[36:37]
	v_mul_f64 v[36:37], v[180:181], v[204:205]
	v_fma_f64 v[56:57], v[152:153], v[202:203], v[36:37]
	v_mul_f64 v[36:37], v[152:153], v[204:205]
	v_fma_f64 v[130:131], v[180:181], v[202:203], -v[36:37]
	v_mul_f64 v[36:37], v[176:177], v[200:201]
	v_fma_f64 v[152:153], v[148:149], v[198:199], v[36:37]
	v_mul_f64 v[36:37], v[148:149], v[200:201]
	v_fma_f64 v[176:177], v[176:177], v[198:199], -v[36:37]
	s_clause 0x3
	global_load_dwordx4 v[198:201], v114, s[12:13] offset:112
	global_load_dwordx4 v[202:205], v114, s[12:13] offset:96
	;; [unrolled: 1-line block ×4, first 2 shown]
	s_waitcnt vmcnt(3)
	v_mul_f64 v[64:65], v[160:161], v[200:201]
	s_waitcnt vmcnt(0)
	v_mul_f64 v[36:37], v[172:173], v[253:254]
	v_fma_f64 v[148:149], v[78:79], v[198:199], v[64:65]
	v_mul_f64 v[64:65], v[78:79], v[200:201]
	v_fma_f64 v[180:181], v[96:97], v[251:252], v[36:37]
	v_mul_f64 v[36:37], v[96:97], v[253:254]
	v_fma_f64 v[156:157], v[160:161], v[198:199], -v[64:65]
	v_fma_f64 v[172:173], v[172:173], v[251:252], -v[36:37]
	v_mul_f64 v[36:37], v[168:169], v[208:209]
	v_fma_f64 v[118:119], v[86:87], v[206:207], v[36:37]
	v_mul_f64 v[36:37], v[86:87], v[208:209]
	v_fma_f64 v[206:207], v[168:169], v[206:207], -v[36:37]
	v_mul_f64 v[36:37], v[164:165], v[204:205]
	v_fma_f64 v[158:159], v[82:83], v[202:203], v[36:37]
	v_mul_f64 v[36:37], v[82:83], v[204:205]
	v_fma_f64 v[164:165], v[164:165], v[202:203], -v[36:37]
	s_clause 0x3
	global_load_dwordx4 v[76:79], v114, s[12:13] offset:176
	global_load_dwordx4 v[80:83], v114, s[12:13] offset:160
	;; [unrolled: 1-line block ×4, first 2 shown]
	s_waitcnt vmcnt(0)
	v_mul_f64 v[64:65], v[144:145], v[202:203]
	v_fma_f64 v[160:161], v[66:67], v[200:201], v[64:65]
	v_mul_f64 v[64:65], v[66:67], v[202:203]
	v_fma_f64 v[144:145], v[144:145], v[200:201], -v[64:65]
	v_mul_f64 v[64:65], v[140:141], v[86:87]
	v_fma_f64 v[188:189], v[62:63], v[84:85], v[64:65]
	v_mul_f64 v[62:63], v[62:63], v[86:87]
	v_fma_f64 v[140:141], v[140:141], v[84:85], -v[62:63]
	v_mul_f64 v[62:63], v[136:137], v[82:83]
	v_fma_f64 v[198:199], v[58:59], v[80:81], v[62:63]
	v_mul_f64 v[58:59], v[58:59], v[82:83]
	v_mul_f64 v[62:63], v[132:133], v[78:79]
	v_fma_f64 v[200:201], v[136:137], v[80:81], -v[58:59]
	v_fma_f64 v[136:137], v[54:55], v[76:77], v[62:63]
	v_mul_f64 v[54:55], v[54:55], v[78:79]
	v_fma_f64 v[54:55], v[132:133], v[76:77], -v[54:55]
	s_clause 0x3
	global_load_dwordx4 v[62:65], v114, s[12:13] offset:240
	global_load_dwordx4 v[76:79], v114, s[12:13] offset:224
	;; [unrolled: 1-line block ×4, first 2 shown]
	s_waitcnt vmcnt(0)
	v_mul_f64 v[66:67], v[128:129], v[86:87]
	v_fma_f64 v[132:133], v[50:51], v[84:85], v[66:67]
	v_mul_f64 v[50:51], v[50:51], v[86:87]
	v_mul_f64 v[66:67], v[124:125], v[82:83]
	v_fma_f64 v[50:51], v[128:129], v[84:85], -v[50:51]
	v_fma_f64 v[128:129], v[46:47], v[80:81], v[66:67]
	v_mul_f64 v[66:67], v[120:121], v[78:79]
	v_mul_f64 v[46:47], v[46:47], v[82:83]
	v_fma_f64 v[168:169], v[42:43], v[76:77], v[66:67]
	v_mul_f64 v[66:67], v[116:117], v[64:65]
	v_mul_f64 v[42:43], v[42:43], v[78:79]
	v_fma_f64 v[46:47], v[124:125], v[80:81], -v[46:47]
	v_fma_f64 v[58:59], v[38:39], v[62:63], v[66:67]
	v_mul_f64 v[38:39], v[38:39], v[64:65]
	buffer_load_dword v64, off, s[60:63], 0 offset:4 ; 4-byte Folded Reload
	v_fma_f64 v[42:43], v[120:121], v[76:77], -v[42:43]
	v_fma_f64 v[38:39], v[116:117], v[62:63], -v[38:39]
	s_waitcnt vmcnt(0)
	v_and_b32_e32 v62, 0xff, v64
	v_mul_lo_u16 v62, v62, 37
	v_lshrrev_b16 v62, 8, v62
	v_sub_nc_u16 v63, v64, v62
	v_lshrrev_b16 v63, 1, v63
	v_and_b32_e32 v63, 0x7f, v63
	v_add_nc_u16 v62, v63, v62
	v_lshrrev_b16 v62, 2, v62
	v_mul_lo_u16 v62, v62, 7
	v_sub_nc_u16 v36, v64, v62
	v_lshlrev_b32_sdwa v96, v250, v36 dst_sel:DWORD dst_unused:UNUSED_PAD src0_sel:DWORD src1_sel:BYTE_0
	buffer_store_dword v36, off, s[60:63], 0 offset:512 ; 4-byte Folded Spill
	s_clause 0x3
	global_load_dwordx4 v[62:65], v96, s[12:13] offset:48
	global_load_dwordx4 v[76:79], v96, s[12:13] offset:32
	;; [unrolled: 1-line block ×3, first 2 shown]
	global_load_dwordx4 v[84:87], v96, s[12:13]
	s_waitcnt vmcnt(0)
	v_mul_f64 v[66:67], v[2:3], v[86:87]
	v_fma_f64 v[36:37], v[6:7], v[84:85], v[66:67]
	buffer_store_dword v36, off, s[60:63], 0 offset:272 ; 4-byte Folded Spill
	buffer_store_dword v37, off, s[60:63], 0 offset:276 ; 4-byte Folded Spill
	buffer_store_dword v0, off, s[60:63], 0 offset:568 ; 4-byte Folded Spill
	buffer_store_dword v1, off, s[60:63], 0 offset:572 ; 4-byte Folded Spill
	buffer_store_dword v2, off, s[60:63], 0 offset:576 ; 4-byte Folded Spill
	buffer_store_dword v3, off, s[60:63], 0 offset:580 ; 4-byte Folded Spill
	v_mul_f64 v[6:7], v[6:7], v[86:87]
	v_mov_b32_e32 v36, v48
	v_mov_b32_e32 v37, v49
	v_fma_f64 v[2:3], v[2:3], v[84:85], -v[6:7]
	buffer_store_dword v2, off, s[60:63], 0 offset:144 ; 4-byte Folded Spill
	buffer_store_dword v3, off, s[60:63], 0 offset:148 ; 4-byte Folded Spill
	v_mul_f64 v[2:3], v[110:111], v[82:83]
	v_fma_f64 v[2:3], v[32:33], v[80:81], v[2:3]
	buffer_store_dword v2, off, s[60:63], 0 offset:104 ; 4-byte Folded Spill
	buffer_store_dword v3, off, s[60:63], 0 offset:108 ; 4-byte Folded Spill
	v_mul_f64 v[2:3], v[32:33], v[82:83]
	v_fma_f64 v[2:3], v[110:111], v[80:81], -v[2:3]
	buffer_store_dword v2, off, s[60:63], 0 offset:88 ; 4-byte Folded Spill
	buffer_store_dword v3, off, s[60:63], 0 offset:92 ; 4-byte Folded Spill
	v_mul_f64 v[2:3], v[112:113], v[78:79]
	v_fma_f64 v[2:3], v[34:35], v[76:77], v[2:3]
	buffer_store_dword v2, off, s[60:63], 0 offset:112 ; 4-byte Folded Spill
	buffer_store_dword v3, off, s[60:63], 0 offset:116 ; 4-byte Folded Spill
	v_mul_f64 v[2:3], v[34:35], v[78:79]
	;; [unrolled: 8-line block ×3, first 2 shown]
	v_fma_f64 v[2:3], v[106:107], v[62:63], -v[2:3]
	buffer_store_dword v2, off, s[60:63], 0 offset:72 ; 4-byte Folded Spill
	buffer_store_dword v3, off, s[60:63], 0 offset:76 ; 4-byte Folded Spill
	s_clause 0x3
	global_load_dwordx4 v[32:35], v96, s[12:13] offset:112
	global_load_dwordx4 v[62:65], v96, s[12:13] offset:96
	;; [unrolled: 1-line block ×4, first 2 shown]
	s_waitcnt vmcnt(0)
	v_mul_f64 v[2:3], v[108:109], v[82:83]
	v_fma_f64 v[2:3], v[30:31], v[80:81], v[2:3]
	buffer_store_dword v2, off, s[60:63], 0 offset:152 ; 4-byte Folded Spill
	buffer_store_dword v3, off, s[60:63], 0 offset:156 ; 4-byte Folded Spill
	v_mul_f64 v[2:3], v[30:31], v[82:83]
	v_fma_f64 v[2:3], v[108:109], v[80:81], -v[2:3]
	buffer_store_dword v2, off, s[60:63], 0 offset:96 ; 4-byte Folded Spill
	buffer_store_dword v3, off, s[60:63], 0 offset:100 ; 4-byte Folded Spill
	v_mul_f64 v[2:3], v[102:103], v[78:79]
	v_fma_f64 v[2:3], v[24:25], v[76:77], v[2:3]
	buffer_store_dword v2, off, s[60:63], 0 offset:168 ; 4-byte Folded Spill
	buffer_store_dword v3, off, s[60:63], 0 offset:172 ; 4-byte Folded Spill
	v_mul_f64 v[2:3], v[24:25], v[78:79]
	v_fma_f64 v[2:3], v[102:103], v[76:77], -v[2:3]
	buffer_store_dword v2, off, s[60:63], 0 offset:136 ; 4-byte Folded Spill
	buffer_store_dword v3, off, s[60:63], 0 offset:140 ; 4-byte Folded Spill
	v_mul_f64 v[2:3], v[104:105], v[64:65]
	v_mov_b32_e32 v102, v232
	v_mov_b32_e32 v103, v233
	v_fma_f64 v[2:3], v[26:27], v[62:63], v[2:3]
	buffer_store_dword v2, off, s[60:63], 0 offset:176 ; 4-byte Folded Spill
	buffer_store_dword v3, off, s[60:63], 0 offset:180 ; 4-byte Folded Spill
	v_mul_f64 v[2:3], v[26:27], v[64:65]
	v_fma_f64 v[2:3], v[104:105], v[62:63], -v[2:3]
	buffer_store_dword v2, off, s[60:63], 0 offset:160 ; 4-byte Folded Spill
	buffer_store_dword v3, off, s[60:63], 0 offset:164 ; 4-byte Folded Spill
	v_mul_f64 v[2:3], v[98:99], v[34:35]
	v_fma_f64 v[2:3], v[20:21], v[32:33], v[2:3]
	buffer_store_dword v2, off, s[60:63], 0 offset:32 ; 4-byte Folded Spill
	buffer_store_dword v3, off, s[60:63], 0 offset:36 ; 4-byte Folded Spill
	v_mul_f64 v[2:3], v[20:21], v[34:35]
	v_fma_f64 v[2:3], v[98:99], v[32:33], -v[2:3]
	buffer_store_dword v2, off, s[60:63], 0 offset:40 ; 4-byte Folded Spill
	buffer_store_dword v3, off, s[60:63], 0 offset:44 ; 4-byte Folded Spill
	s_clause 0x3
	global_load_dwordx4 v[24:27], v96, s[12:13] offset:176
	global_load_dwordx4 v[28:31], v96, s[12:13] offset:160
	;; [unrolled: 1-line block ×4, first 2 shown]
	v_add_f64 v[98:99], v[148:149], v[160:161]
	s_waitcnt vmcnt(0)
	v_mul_f64 v[2:3], v[100:101], v[64:65]
	v_fma_f64 v[2:3], v[22:23], v[62:63], v[2:3]
	buffer_store_dword v2, off, s[60:63], 0 offset:48 ; 4-byte Folded Spill
	buffer_store_dword v3, off, s[60:63], 0 offset:52 ; 4-byte Folded Spill
	v_mul_f64 v[2:3], v[22:23], v[64:65]
	v_fma_f64 v[2:3], v[100:101], v[62:63], -v[2:3]
	buffer_store_dword v2, off, s[60:63], 0 offset:64 ; 4-byte Folded Spill
	buffer_store_dword v3, off, s[60:63], 0 offset:68 ; 4-byte Folded Spill
	v_mul_f64 v[2:3], v[88:89], v[34:35]
	v_fma_f64 v[2:3], v[16:17], v[32:33], v[2:3]
	buffer_store_dword v2, off, s[60:63], 0 offset:224 ; 4-byte Folded Spill
	buffer_store_dword v3, off, s[60:63], 0 offset:228 ; 4-byte Folded Spill
	v_mul_f64 v[2:3], v[16:17], v[34:35]
	v_fma_f64 v[2:3], v[88:89], v[32:33], -v[2:3]
	buffer_store_dword v2, off, s[60:63], 0 offset:216 ; 4-byte Folded Spill
	buffer_store_dword v3, off, s[60:63], 0 offset:220 ; 4-byte Folded Spill
	;; [unrolled: 8-line block ×4, first 2 shown]
	s_clause 0x3
	global_load_dwordx4 v[16:19], v96, s[12:13] offset:240
	global_load_dwordx4 v[20:23], v96, s[12:13] offset:224
	global_load_dwordx4 v[24:27], v96, s[12:13] offset:208
	global_load_dwordx4 v[28:31], v96, s[12:13] offset:192
	s_waitcnt vmcnt(0)
	v_mul_f64 v[2:3], v[74:75], v[30:31]
	v_fma_f64 v[2:3], v[14:15], v[28:29], v[2:3]
	buffer_store_dword v2, off, s[60:63], 0 offset:248 ; 4-byte Folded Spill
	buffer_store_dword v3, off, s[60:63], 0 offset:252 ; 4-byte Folded Spill
	v_mul_f64 v[2:3], v[14:15], v[30:31]
	v_fma_f64 v[2:3], v[74:75], v[28:29], -v[2:3]
	buffer_store_dword v2, off, s[60:63], 0 offset:200 ; 4-byte Folded Spill
	buffer_store_dword v3, off, s[60:63], 0 offset:204 ; 4-byte Folded Spill
	s_waitcnt lgkmcnt(1)
	v_mul_f64 v[2:3], v[68:69], v[26:27]
	v_fma_f64 v[2:3], v[8:9], v[24:25], v[2:3]
	buffer_store_dword v2, off, s[60:63], 0 offset:256 ; 4-byte Folded Spill
	buffer_store_dword v3, off, s[60:63], 0 offset:260 ; 4-byte Folded Spill
	v_mul_f64 v[2:3], v[8:9], v[26:27]
	v_fma_f64 v[2:3], v[68:69], v[24:25], -v[2:3]
	buffer_store_dword v2, off, s[60:63], 0 offset:184 ; 4-byte Folded Spill
	buffer_store_dword v3, off, s[60:63], 0 offset:188 ; 4-byte Folded Spill
	v_mul_f64 v[2:3], v[70:71], v[22:23]
	v_fma_f64 v[2:3], v[10:11], v[20:21], v[2:3]
	buffer_store_dword v2, off, s[60:63], 0 offset:264 ; 4-byte Folded Spill
	buffer_store_dword v3, off, s[60:63], 0 offset:268 ; 4-byte Folded Spill
	v_mul_f64 v[2:3], v[10:11], v[22:23]
	v_fma_f64 v[2:3], v[70:71], v[20:21], -v[2:3]
	buffer_store_dword v2, off, s[60:63], 0 offset:128 ; 4-byte Folded Spill
	buffer_store_dword v3, off, s[60:63], 0 offset:132 ; 4-byte Folded Spill
	s_waitcnt lgkmcnt(0)
	v_mul_f64 v[2:3], v[248:249], v[18:19]
	v_fma_f64 v[2:3], v[246:247], v[16:17], v[2:3]
	buffer_store_dword v2, off, s[60:63], 0 offset:280 ; 4-byte Folded Spill
	buffer_store_dword v3, off, s[60:63], 0 offset:284 ; 4-byte Folded Spill
	v_mul_f64 v[2:3], v[246:247], v[18:19]
	v_fma_f64 v[2:3], v[248:249], v[16:17], -v[2:3]
	buffer_store_dword v2, off, s[60:63], 0 offset:56 ; 4-byte Folded Spill
	buffer_store_dword v3, off, s[60:63], 0 offset:60 ; 4-byte Folded Spill
	v_add_f64 v[2:3], v[244:245], v[196:197]
	v_add_f64 v[2:3], v[2:3], v[92:93]
	;; [unrolled: 1-line block ×16, first 2 shown]
	buffer_store_dword v196, off, s[60:63], 0 offset:524 ; 4-byte Folded Spill
	buffer_store_dword v197, off, s[60:63], 0 offset:528 ; 4-byte Folded Spill
	;; [unrolled: 1-line block ×24, first 2 shown]
	v_add_f64 v[2:3], v[196:197], v[40:41]
	v_add_f64 v[6:7], v[190:191], -v[44:45]
	v_mov_b32_e32 v40, v44
	v_add_f64 v[66:67], v[186:187], -v[48:49]
	v_mov_b32_e32 v41, v45
	v_mov_b32_e32 v44, v52
	;; [unrolled: 1-line block ×5, first 2 shown]
	v_mul_f64 v[8:9], v[6:7], s[6:7]
	v_mul_f64 v[14:15], v[6:7], s[14:15]
	;; [unrolled: 1-line block ×9, first 2 shown]
	v_fma_f64 v[12:13], v[2:3], s[8:9], v[8:9]
	v_fma_f64 v[8:9], v[2:3], s[8:9], -v[8:9]
	v_fma_f64 v[16:17], v[2:3], s[18:19], v[14:15]
	v_fma_f64 v[14:15], v[2:3], s[18:19], -v[14:15]
	;; [unrolled: 2-line block ×8, first 2 shown]
	v_add_f64 v[6:7], v[92:93], v[230:231]
	v_mov_b32_e32 v92, v178
	v_mov_b32_e32 v93, v179
	v_add_f64 v[12:13], v[244:245], v[12:13]
	v_add_f64 v[8:9], v[244:245], v[8:9]
	;; [unrolled: 1-line block ×16, first 2 shown]
	v_fma_f64 v[70:71], v[6:7], s[18:19], v[68:69]
	v_fma_f64 v[68:69], v[6:7], s[18:19], -v[68:69]
	v_add_f64 v[12:13], v[70:71], v[12:13]
	v_add_f64 v[8:9], v[68:69], v[8:9]
	v_mul_f64 v[68:69], v[66:67], s[22:23]
	v_fma_f64 v[70:71], v[6:7], s[28:29], v[68:69]
	v_fma_f64 v[68:69], v[6:7], s[28:29], -v[68:69]
	v_add_f64 v[16:17], v[70:71], v[16:17]
	v_add_f64 v[14:15], v[68:69], v[14:15]
	v_mul_f64 v[68:69], v[66:67], s[26:27]
	v_fma_f64 v[70:71], v[6:7], s[38:39], v[68:69]
	v_fma_f64 v[68:69], v[6:7], s[38:39], -v[68:69]
	v_add_f64 v[20:21], v[70:71], v[20:21]
	v_add_f64 v[18:19], v[68:69], v[18:19]
	v_mul_f64 v[68:69], v[66:67], s[36:37]
	v_fma_f64 v[70:71], v[6:7], s[42:43], v[68:69]
	v_fma_f64 v[68:69], v[6:7], s[42:43], -v[68:69]
	v_add_f64 v[24:25], v[70:71], v[24:25]
	v_add_f64 v[22:23], v[68:69], v[22:23]
	v_mul_f64 v[68:69], v[66:67], s[46:47]
	v_fma_f64 v[70:71], v[6:7], s[40:41], v[68:69]
	v_fma_f64 v[68:69], v[6:7], s[40:41], -v[68:69]
	v_add_f64 v[28:29], v[70:71], v[28:29]
	v_add_f64 v[26:27], v[68:69], v[26:27]
	v_mul_f64 v[68:69], v[66:67], s[44:45]
	v_fma_f64 v[70:71], v[6:7], s[34:35], v[68:69]
	v_fma_f64 v[68:69], v[6:7], s[34:35], -v[68:69]
	v_add_f64 v[32:33], v[70:71], v[32:33]
	v_add_f64 v[30:31], v[68:69], v[30:31]
	v_mul_f64 v[68:69], v[66:67], s[48:49]
	v_mul_f64 v[66:67], v[66:67], s[50:51]
	v_fma_f64 v[70:71], v[6:7], s[20:21], v[68:69]
	v_fma_f64 v[68:69], v[6:7], s[20:21], -v[68:69]
	v_add_f64 v[62:63], v[70:71], v[62:63]
	v_add_f64 v[34:35], v[68:69], v[34:35]
	v_fma_f64 v[68:69], v[6:7], s[8:9], v[66:67]
	v_fma_f64 v[6:7], v[6:7], s[8:9], -v[66:67]
	v_add_f64 v[66:67], v[240:241], -v[52:53]
	v_add_f64 v[64:65], v[68:69], v[64:65]
	v_add_f64 v[2:3], v[6:7], v[2:3]
	v_add_f64 v[6:7], v[182:183], v[154:155]
	v_mul_f64 v[68:69], v[66:67], s[16:17]
	v_fma_f64 v[70:71], v[6:7], s[20:21], v[68:69]
	v_fma_f64 v[68:69], v[6:7], s[20:21], -v[68:69]
	v_add_f64 v[12:13], v[70:71], v[12:13]
	v_add_f64 v[8:9], v[68:69], v[8:9]
	v_mul_f64 v[68:69], v[66:67], s[26:27]
	v_fma_f64 v[70:71], v[6:7], s[38:39], v[68:69]
	v_fma_f64 v[68:69], v[6:7], s[38:39], -v[68:69]
	v_add_f64 v[16:17], v[70:71], v[16:17]
	v_add_f64 v[14:15], v[68:69], v[14:15]
	v_mul_f64 v[68:69], v[66:67], s[52:53]
	v_fma_f64 v[70:71], v[6:7], s[42:43], v[68:69]
	v_fma_f64 v[68:69], v[6:7], s[42:43], -v[68:69]
	v_add_f64 v[20:21], v[70:71], v[20:21]
	v_add_f64 v[18:19], v[68:69], v[18:19]
	v_mul_f64 v[68:69], v[66:67], s[44:45]
	v_fma_f64 v[70:71], v[6:7], s[34:35], v[68:69]
	v_fma_f64 v[68:69], v[6:7], s[34:35], -v[68:69]
	v_add_f64 v[24:25], v[70:71], v[24:25]
	v_add_f64 v[22:23], v[68:69], v[22:23]
	v_mul_f64 v[68:69], v[66:67], s[54:55]
	v_fma_f64 v[70:71], v[6:7], s[18:19], v[68:69]
	v_fma_f64 v[68:69], v[6:7], s[18:19], -v[68:69]
	v_add_f64 v[28:29], v[70:71], v[28:29]
	v_add_f64 v[26:27], v[68:69], v[26:27]
	v_mul_f64 v[68:69], v[66:67], s[6:7]
	v_fma_f64 v[70:71], v[6:7], s[8:9], v[68:69]
	v_fma_f64 v[68:69], v[6:7], s[8:9], -v[68:69]
	v_add_f64 v[32:33], v[70:71], v[32:33]
	v_add_f64 v[30:31], v[68:69], v[30:31]
	v_mul_f64 v[68:69], v[66:67], s[22:23]
	v_mul_f64 v[66:67], v[66:67], s[30:31]
	v_fma_f64 v[70:71], v[6:7], s[28:29], v[68:69]
	v_fma_f64 v[68:69], v[6:7], s[28:29], -v[68:69]
	v_add_f64 v[62:63], v[70:71], v[62:63]
	v_add_f64 v[34:35], v[68:69], v[34:35]
	v_fma_f64 v[68:69], v[6:7], s[40:41], v[66:67]
	v_fma_f64 v[6:7], v[6:7], s[40:41], -v[66:67]
	v_add_f64 v[66:67], v[227:228], -v[232:233]
	v_add_f64 v[64:65], v[68:69], v[64:65]
	v_add_f64 v[2:3], v[6:7], v[2:3]
	v_add_f64 v[6:7], v[92:93], v[150:151]
	v_mul_f64 v[68:69], v[66:67], s[22:23]
	;; [unrolled: 42-line block ×3, first 2 shown]
	v_fma_f64 v[70:71], v[6:7], s[34:35], v[68:69]
	v_fma_f64 v[68:69], v[6:7], s[34:35], -v[68:69]
	v_add_f64 v[12:13], v[70:71], v[12:13]
	v_add_f64 v[8:9], v[68:69], v[8:9]
	v_mul_f64 v[68:69], v[66:67], s[46:47]
	v_fma_f64 v[70:71], v[6:7], s[40:41], v[68:69]
	v_fma_f64 v[68:69], v[6:7], s[40:41], -v[68:69]
	v_add_f64 v[16:17], v[70:71], v[16:17]
	v_add_f64 v[14:15], v[68:69], v[14:15]
	v_mul_f64 v[68:69], v[66:67], s[54:55]
	;; [unrolled: 5-line block ×6, first 2 shown]
	v_mul_f64 v[66:67], v[66:67], s[26:27]
	v_fma_f64 v[70:71], v[6:7], s[8:9], v[68:69]
	v_fma_f64 v[68:69], v[6:7], s[8:9], -v[68:69]
	v_add_f64 v[62:63], v[70:71], v[62:63]
	v_add_f64 v[34:35], v[68:69], v[34:35]
	v_fma_f64 v[68:69], v[6:7], s[38:39], v[66:67]
	v_fma_f64 v[6:7], v[6:7], s[38:39], -v[66:67]
	v_add_f64 v[64:65], v[68:69], v[64:65]
	v_add_f64 v[2:3], v[6:7], v[2:3]
	v_add_f64 v[6:7], v[218:219], v[60:61]
	s_clause 0x1
	buffer_load_dword v218, off, s[60:63], 0 offset:560
	buffer_load_dword v219, off, s[60:63], 0 offset:564
	buffer_store_dword v94, off, s[60:63], 0 offset:392 ; 4-byte Folded Spill
	buffer_store_dword v95, off, s[60:63], 0 offset:396 ; 4-byte Folded Spill
	;; [unrolled: 1-line block ×12, first 2 shown]
	s_waitcnt vmcnt(0)
	v_add_f64 v[66:67], v[218:219], -v[142:143]
	v_mul_f64 v[68:69], v[66:67], s[26:27]
	v_fma_f64 v[70:71], v[6:7], s[38:39], v[68:69]
	v_fma_f64 v[68:69], v[6:7], s[38:39], -v[68:69]
	v_add_f64 v[12:13], v[70:71], v[12:13]
	v_add_f64 v[8:9], v[68:69], v[8:9]
	v_mul_f64 v[68:69], v[66:67], s[44:45]
	v_fma_f64 v[70:71], v[6:7], s[34:35], v[68:69]
	v_fma_f64 v[68:69], v[6:7], s[34:35], -v[68:69]
	v_add_f64 v[16:17], v[70:71], v[16:17]
	v_add_f64 v[14:15], v[68:69], v[14:15]
	;; [unrolled: 5-line block ×6, first 2 shown]
	v_mul_f64 v[68:69], v[66:67], s[36:37]
	v_mul_f64 v[66:67], v[66:67], s[48:49]
	v_fma_f64 v[70:71], v[6:7], s[42:43], v[68:69]
	v_fma_f64 v[68:69], v[6:7], s[42:43], -v[68:69]
	v_add_f64 v[62:63], v[70:71], v[62:63]
	v_add_f64 v[34:35], v[68:69], v[34:35]
	v_fma_f64 v[68:69], v[6:7], s[20:21], v[66:67]
	v_fma_f64 v[6:7], v[6:7], s[20:21], -v[66:67]
	v_add_f64 v[66:67], v[216:217], -v[138:139]
	v_add_f64 v[64:65], v[68:69], v[64:65]
	v_add_f64 v[2:3], v[6:7], v[2:3]
	;; [unrolled: 1-line block ×3, first 2 shown]
	v_mul_f64 v[68:69], v[66:67], s[30:31]
	v_fma_f64 v[70:71], v[6:7], s[40:41], v[68:69]
	v_fma_f64 v[68:69], v[6:7], s[40:41], -v[68:69]
	v_add_f64 v[12:13], v[70:71], v[12:13]
	v_add_f64 v[8:9], v[68:69], v[8:9]
	v_mul_f64 v[68:69], v[66:67], s[48:49]
	v_fma_f64 v[70:71], v[6:7], s[20:21], v[68:69]
	v_fma_f64 v[68:69], v[6:7], s[20:21], -v[68:69]
	v_add_f64 v[16:17], v[70:71], v[16:17]
	v_add_f64 v[14:15], v[68:69], v[14:15]
	;; [unrolled: 5-line block ×6, first 2 shown]
	v_mul_f64 v[68:69], v[66:67], s[54:55]
	v_mul_f64 v[66:67], v[66:67], s[24:25]
	v_fma_f64 v[70:71], v[6:7], s[18:19], v[68:69]
	v_fma_f64 v[68:69], v[6:7], s[18:19], -v[68:69]
	v_add_f64 v[62:63], v[70:71], v[62:63]
	v_add_f64 v[34:35], v[68:69], v[34:35]
	v_fma_f64 v[68:69], v[6:7], s[34:35], v[66:67]
	v_fma_f64 v[6:7], v[6:7], s[34:35], -v[66:67]
	v_add_f64 v[70:71], v[222:223], -v[212:213]
	v_add_f64 v[64:65], v[68:69], v[64:65]
	v_add_f64 v[2:3], v[6:7], v[2:3]
	;; [unrolled: 1-line block ×3, first 2 shown]
	v_mul_f64 v[66:67], v[70:71], s[36:37]
	v_fma_f64 v[68:69], v[6:7], s[42:43], v[66:67]
	v_add_f64 v[80:81], v[68:69], v[12:13]
	v_fma_f64 v[12:13], v[6:7], s[42:43], -v[66:67]
	v_add_f64 v[192:193], v[12:13], v[8:9]
	v_mul_f64 v[8:9], v[70:71], s[50:51]
	v_fma_f64 v[12:13], v[6:7], s[8:9], v[8:9]
	v_fma_f64 v[8:9], v[6:7], s[8:9], -v[8:9]
	v_add_f64 v[82:83], v[12:13], v[16:17]
	v_add_f64 v[244:245], v[8:9], v[14:15]
	v_mul_f64 v[8:9], v[70:71], s[30:31]
	v_fma_f64 v[12:13], v[6:7], s[40:41], v[8:9]
	v_fma_f64 v[8:9], v[6:7], s[40:41], -v[8:9]
	v_add_f64 v[84:85], v[12:13], v[20:21]
	;; [unrolled: 5-line block ×7, first 2 shown]
	v_add_f64 v[64:65], v[6:7], v[2:3]
	v_add_f64 v[2:3], v[242:243], v[146:147]
	buffer_store_dword v146, off, s[60:63], 0 offset:376 ; 4-byte Folded Spill
	buffer_store_dword v147, off, s[60:63], 0 offset:380 ; 4-byte Folded Spill
	buffer_store_dword v38, off, s[60:63], 0 offset:504 ; 4-byte Folded Spill
	buffer_store_dword v39, off, s[60:63], 0 offset:508 ; 4-byte Folded Spill
	v_add_f64 v[2:3], v[2:3], v[174:175]
	buffer_store_dword v174, off, s[60:63], 0 offset:320 ; 4-byte Folded Spill
	buffer_store_dword v175, off, s[60:63], 0 offset:324 ; 4-byte Folded Spill
	buffer_store_dword v184, off, s[60:63], 0 offset:344 ; 4-byte Folded Spill
	buffer_store_dword v185, off, s[60:63], 0 offset:348 ; 4-byte Folded Spill
	;; [unrolled: 5-line block ×3, first 2 shown]
	buffer_store_dword v176, off, s[60:63], 0 offset:288 ; 4-byte Folded Spill
	buffer_store_dword v177, off, s[60:63], 0 offset:292 ; 4-byte Folded Spill
	v_add_f64 v[2:3], v[2:3], v[152:153]
	v_add_f64 v[2:3], v[2:3], v[180:181]
	buffer_store_dword v180, off, s[60:63], 0 offset:336 ; 4-byte Folded Spill
	buffer_store_dword v181, off, s[60:63], 0 offset:340 ; 4-byte Folded Spill
	;; [unrolled: 1-line block ×4, first 2 shown]
	v_add_f64 v[2:3], v[2:3], v[118:119]
	buffer_store_dword v118, off, s[60:63], 0 offset:304 ; 4-byte Folded Spill
	buffer_store_dword v119, off, s[60:63], 0 offset:308 ; 4-byte Folded Spill
	;; [unrolled: 1-line block ×4, first 2 shown]
	v_add_f64 v[2:3], v[2:3], v[158:159]
	v_add_f64 v[2:3], v[2:3], v[148:149]
	;; [unrolled: 1-line block ×4, first 2 shown]
	buffer_store_dword v188, off, s[60:63], 0 offset:384 ; 4-byte Folded Spill
	buffer_store_dword v189, off, s[60:63], 0 offset:388 ; 4-byte Folded Spill
	;; [unrolled: 1-line block ×6, first 2 shown]
	s_waitcnt_vscnt null, 0x0
	s_barrier
	buffer_gl0_inv
	buffer_load_dword v0, off, s[60:63], 0 offset:556 ; 4-byte Folded Reload
	v_add_f64 v[2:3], v[2:3], v[198:199]
	v_add_f64 v[2:3], v[2:3], v[136:137]
	;; [unrolled: 1-line block ×5, first 2 shown]
	v_add_f64 v[6:7], v[122:123], -v[38:39]
	v_add_f64 v[24:25], v[2:3], v[58:59]
	v_add_f64 v[2:3], v[146:147], v[58:59]
	v_mov_b32_e32 v147, v123
	v_mov_b32_e32 v146, v122
	v_mul_f64 v[8:9], v[6:7], s[6:7]
	v_mul_f64 v[14:15], v[6:7], s[14:15]
	;; [unrolled: 1-line block ×8, first 2 shown]
	v_add_f64 v[86:87], v[184:185], -v[42:43]
	v_fma_f64 v[12:13], v[2:3], s[8:9], v[8:9]
	v_fma_f64 v[8:9], v[2:3], s[8:9], -v[8:9]
	v_fma_f64 v[16:17], v[2:3], s[18:19], v[14:15]
	v_fma_f64 v[14:15], v[2:3], s[18:19], -v[14:15]
	;; [unrolled: 2-line block ×8, first 2 shown]
	v_add_f64 v[6:7], v[174:175], v[168:169]
	v_mul_f64 v[88:89], v[86:87], s[14:15]
	v_add_f64 v[12:13], v[242:243], v[12:13]
	v_add_f64 v[8:9], v[242:243], v[8:9]
	v_add_f64 v[16:17], v[242:243], v[16:17]
	v_add_f64 v[14:15], v[242:243], v[14:15]
	v_add_f64 v[20:21], v[242:243], v[20:21]
	v_add_f64 v[18:19], v[242:243], v[18:19]
	v_add_f64 v[26:27], v[242:243], v[26:27]
	v_add_f64 v[22:23], v[242:243], v[22:23]
	v_add_f64 v[30:31], v[242:243], v[30:31]
	v_add_f64 v[28:29], v[242:243], v[28:29]
	v_add_f64 v[34:35], v[242:243], v[34:35]
	v_add_f64 v[32:33], v[242:243], v[32:33]
	v_add_f64 v[72:73], v[242:243], v[72:73]
	v_add_f64 v[70:71], v[242:243], v[70:71]
	v_add_f64 v[74:75], v[242:243], v[74:75]
	v_add_f64 v[2:3], v[242:243], v[2:3]
	v_fma_f64 v[90:91], v[6:7], s[18:19], v[88:89]
	v_fma_f64 v[88:89], v[6:7], s[18:19], -v[88:89]
	v_add_f64 v[12:13], v[90:91], v[12:13]
	v_add_f64 v[8:9], v[88:89], v[8:9]
	v_mul_f64 v[88:89], v[86:87], s[22:23]
	v_fma_f64 v[90:91], v[6:7], s[28:29], v[88:89]
	v_fma_f64 v[88:89], v[6:7], s[28:29], -v[88:89]
	v_add_f64 v[16:17], v[90:91], v[16:17]
	v_add_f64 v[14:15], v[88:89], v[14:15]
	v_mul_f64 v[88:89], v[86:87], s[26:27]
	;; [unrolled: 5-line block ×3, first 2 shown]
	v_add_f64 v[100:101], v[156:157], -v[144:145]
	v_fma_f64 v[90:91], v[6:7], s[42:43], v[88:89]
	v_fma_f64 v[88:89], v[6:7], s[42:43], -v[88:89]
	v_add_f64 v[26:27], v[90:91], v[26:27]
	v_add_f64 v[22:23], v[88:89], v[22:23]
	v_mul_f64 v[88:89], v[86:87], s[46:47]
	v_fma_f64 v[90:91], v[6:7], s[40:41], v[88:89]
	v_fma_f64 v[88:89], v[6:7], s[40:41], -v[88:89]
	v_add_f64 v[30:31], v[90:91], v[30:31]
	v_add_f64 v[28:29], v[88:89], v[28:29]
	v_mul_f64 v[88:89], v[86:87], s[44:45]
	;; [unrolled: 5-line block ×3, first 2 shown]
	v_mul_f64 v[86:87], v[86:87], s[50:51]
	v_fma_f64 v[90:91], v[6:7], s[20:21], v[88:89]
	v_fma_f64 v[88:89], v[6:7], s[20:21], -v[88:89]
	v_add_f64 v[72:73], v[90:91], v[72:73]
	v_add_f64 v[70:71], v[88:89], v[70:71]
	v_fma_f64 v[88:89], v[6:7], s[8:9], v[86:87]
	v_fma_f64 v[6:7], v[6:7], s[8:9], -v[86:87]
	v_add_f64 v[86:87], v[130:131], -v[46:47]
	v_add_f64 v[74:75], v[88:89], v[74:75]
	v_add_f64 v[2:3], v[6:7], v[2:3]
	v_add_f64 v[6:7], v[56:57], v[128:129]
	v_mul_f64 v[88:89], v[86:87], s[16:17]
	v_fma_f64 v[90:91], v[6:7], s[20:21], v[88:89]
	v_fma_f64 v[88:89], v[6:7], s[20:21], -v[88:89]
	v_add_f64 v[12:13], v[90:91], v[12:13]
	v_add_f64 v[8:9], v[88:89], v[8:9]
	v_mul_f64 v[88:89], v[86:87], s[26:27]
	v_fma_f64 v[90:91], v[6:7], s[38:39], v[88:89]
	v_fma_f64 v[88:89], v[6:7], s[38:39], -v[88:89]
	v_add_f64 v[16:17], v[90:91], v[16:17]
	v_add_f64 v[14:15], v[88:89], v[14:15]
	;; [unrolled: 5-line block ×6, first 2 shown]
	v_mul_f64 v[88:89], v[86:87], s[22:23]
	v_mul_f64 v[86:87], v[86:87], s[30:31]
	v_fma_f64 v[90:91], v[6:7], s[28:29], v[88:89]
	v_fma_f64 v[88:89], v[6:7], s[28:29], -v[88:89]
	v_add_f64 v[72:73], v[90:91], v[72:73]
	v_add_f64 v[70:71], v[88:89], v[70:71]
	v_fma_f64 v[88:89], v[6:7], s[40:41], v[86:87]
	v_fma_f64 v[6:7], v[6:7], s[40:41], -v[86:87]
	v_add_f64 v[86:87], v[176:177], -v[50:51]
	v_mov_b32_e32 v176, v200
	v_mov_b32_e32 v177, v201
	v_add_f64 v[74:75], v[88:89], v[74:75]
	v_add_f64 v[2:3], v[6:7], v[2:3]
	;; [unrolled: 1-line block ×3, first 2 shown]
	v_mul_f64 v[88:89], v[86:87], s[22:23]
	v_fma_f64 v[90:91], v[6:7], s[28:29], v[88:89]
	v_fma_f64 v[88:89], v[6:7], s[28:29], -v[88:89]
	v_add_f64 v[12:13], v[90:91], v[12:13]
	v_add_f64 v[8:9], v[88:89], v[8:9]
	v_mul_f64 v[88:89], v[86:87], s[36:37]
	v_fma_f64 v[90:91], v[6:7], s[42:43], v[88:89]
	v_fma_f64 v[88:89], v[6:7], s[42:43], -v[88:89]
	v_add_f64 v[16:17], v[90:91], v[16:17]
	v_add_f64 v[14:15], v[88:89], v[14:15]
	;; [unrolled: 5-line block ×6, first 2 shown]
	v_mul_f64 v[88:89], v[86:87], s[56:57]
	v_mul_f64 v[86:87], v[86:87], s[54:55]
	v_fma_f64 v[90:91], v[6:7], s[38:39], v[88:89]
	v_fma_f64 v[88:89], v[6:7], s[38:39], -v[88:89]
	v_add_f64 v[72:73], v[90:91], v[72:73]
	v_add_f64 v[70:71], v[88:89], v[70:71]
	v_fma_f64 v[88:89], v[6:7], s[18:19], v[86:87]
	v_fma_f64 v[6:7], v[6:7], s[18:19], -v[86:87]
	v_add_f64 v[86:87], v[172:173], -v[54:55]
	v_mov_b32_e32 v172, v198
	v_mov_b32_e32 v173, v199
	v_add_f64 v[74:75], v[88:89], v[74:75]
	v_add_f64 v[2:3], v[6:7], v[2:3]
	v_add_f64 v[6:7], v[180:181], v[136:137]
	v_mul_f64 v[88:89], v[86:87], s[24:25]
	v_fma_f64 v[90:91], v[6:7], s[34:35], v[88:89]
	v_fma_f64 v[88:89], v[6:7], s[34:35], -v[88:89]
	v_add_f64 v[12:13], v[90:91], v[12:13]
	v_add_f64 v[8:9], v[88:89], v[8:9]
	v_mul_f64 v[88:89], v[86:87], s[46:47]
	v_fma_f64 v[90:91], v[6:7], s[40:41], v[88:89]
	v_fma_f64 v[88:89], v[6:7], s[40:41], -v[88:89]
	v_add_f64 v[16:17], v[90:91], v[16:17]
	v_add_f64 v[14:15], v[88:89], v[14:15]
	;; [unrolled: 5-line block ×6, first 2 shown]
	v_mul_f64 v[88:89], v[86:87], s[6:7]
	v_mul_f64 v[86:87], v[86:87], s[26:27]
	v_fma_f64 v[90:91], v[6:7], s[8:9], v[88:89]
	v_fma_f64 v[88:89], v[6:7], s[8:9], -v[88:89]
	v_add_f64 v[72:73], v[90:91], v[72:73]
	v_add_f64 v[70:71], v[88:89], v[70:71]
	v_fma_f64 v[88:89], v[6:7], s[38:39], v[86:87]
	v_fma_f64 v[6:7], v[6:7], s[38:39], -v[86:87]
	v_add_f64 v[86:87], v[206:207], -v[200:201]
	v_add_f64 v[74:75], v[88:89], v[74:75]
	v_add_f64 v[2:3], v[6:7], v[2:3]
	;; [unrolled: 1-line block ×3, first 2 shown]
	v_mul_f64 v[88:89], v[86:87], s[26:27]
	v_fma_f64 v[90:91], v[6:7], s[38:39], v[88:89]
	v_fma_f64 v[88:89], v[6:7], s[38:39], -v[88:89]
	v_add_f64 v[12:13], v[90:91], v[12:13]
	v_add_f64 v[8:9], v[88:89], v[8:9]
	v_mul_f64 v[88:89], v[86:87], s[44:45]
	v_fma_f64 v[90:91], v[6:7], s[34:35], v[88:89]
	v_fma_f64 v[88:89], v[6:7], s[34:35], -v[88:89]
	v_add_f64 v[16:17], v[90:91], v[16:17]
	v_add_f64 v[14:15], v[88:89], v[14:15]
	;; [unrolled: 5-line block ×6, first 2 shown]
	v_mul_f64 v[88:89], v[86:87], s[36:37]
	v_mul_f64 v[86:87], v[86:87], s[48:49]
	v_fma_f64 v[90:91], v[6:7], s[42:43], v[88:89]
	v_fma_f64 v[88:89], v[6:7], s[42:43], -v[88:89]
	v_add_f64 v[72:73], v[90:91], v[72:73]
	v_add_f64 v[70:71], v[88:89], v[70:71]
	v_fma_f64 v[88:89], v[6:7], s[20:21], v[86:87]
	v_fma_f64 v[6:7], v[6:7], s[20:21], -v[86:87]
	v_add_f64 v[86:87], v[164:165], -v[140:141]
	v_add_f64 v[74:75], v[88:89], v[74:75]
	v_add_f64 v[2:3], v[6:7], v[2:3]
	;; [unrolled: 1-line block ×3, first 2 shown]
	v_mul_f64 v[88:89], v[86:87], s[30:31]
	v_fma_f64 v[90:91], v[6:7], s[40:41], v[88:89]
	v_fma_f64 v[88:89], v[6:7], s[40:41], -v[88:89]
	v_add_f64 v[12:13], v[90:91], v[12:13]
	v_add_f64 v[8:9], v[88:89], v[8:9]
	v_mul_f64 v[88:89], v[86:87], s[48:49]
	v_fma_f64 v[90:91], v[6:7], s[20:21], v[88:89]
	v_fma_f64 v[88:89], v[6:7], s[20:21], -v[88:89]
	v_add_f64 v[16:17], v[90:91], v[16:17]
	v_add_f64 v[14:15], v[88:89], v[14:15]
	;; [unrolled: 5-line block ×4, first 2 shown]
	v_mul_f64 v[88:89], v[86:87], s[6:7]
	v_fma_f64 v[90:91], v[6:7], s[8:9], v[88:89]
	v_add_f64 v[90:91], v[90:91], v[30:31]
	v_fma_f64 v[30:31], v[6:7], s[8:9], -v[88:89]
	v_add_f64 v[28:29], v[30:31], v[28:29]
	v_mul_f64 v[30:31], v[86:87], s[36:37]
	v_fma_f64 v[88:89], v[6:7], s[42:43], v[30:31]
	v_fma_f64 v[30:31], v[6:7], s[42:43], -v[30:31]
	v_add_f64 v[88:89], v[88:89], v[34:35]
	v_add_f64 v[96:97], v[30:31], v[32:33]
	v_mul_f64 v[30:31], v[86:87], s[54:55]
	v_fma_f64 v[32:33], v[6:7], s[18:19], v[30:31]
	v_fma_f64 v[30:31], v[6:7], s[18:19], -v[30:31]
	v_add_f64 v[72:73], v[32:33], v[72:73]
	;; [unrolled: 5-line block ×4, first 2 shown]
	v_mul_f64 v[6:7], v[100:101], s[50:51]
	v_add_f64 v[2:3], v[2:3], v[8:9]
	v_fma_f64 v[8:9], v[98:99], s[8:9], v[6:7]
	v_fma_f64 v[6:7], v[98:99], s[8:9], -v[6:7]
	v_add_f64 v[34:35], v[8:9], v[16:17]
	v_mul_f64 v[8:9], v[100:101], s[30:31]
	v_add_f64 v[6:7], v[6:7], v[14:15]
	v_fma_f64 v[12:13], v[98:99], s[40:41], v[8:9]
	v_fma_f64 v[8:9], v[98:99], s[40:41], -v[8:9]
	v_add_f64 v[180:181], v[12:13], v[20:21]
	;; [unrolled: 5-line block ×3, first 2 shown]
	v_mul_f64 v[14:15], v[100:101], s[26:27]
	v_add_f64 v[12:13], v[12:13], v[22:23]
	v_mul_f64 v[22:23], v[100:101], s[58:59]
	v_fma_f64 v[16:17], v[98:99], s[38:39], v[14:15]
	v_fma_f64 v[14:15], v[98:99], s[38:39], -v[14:15]
	v_add_f64 v[32:33], v[16:17], v[90:91]
	v_mul_f64 v[16:17], v[100:101], s[48:49]
	v_add_f64 v[14:15], v[14:15], v[28:29]
	v_fma_f64 v[18:19], v[98:99], s[20:21], v[16:17]
	v_fma_f64 v[16:17], v[98:99], s[20:21], -v[16:17]
	v_add_f64 v[26:27], v[18:19], v[88:89]
	v_mul_f64 v[18:19], v[100:101], s[24:25]
	v_add_f64 v[16:17], v[16:17], v[96:97]
	v_fma_f64 v[20:21], v[98:99], s[34:35], v[18:19]
	v_fma_f64 v[18:19], v[98:99], s[34:35], -v[18:19]
	v_add_f64 v[28:29], v[20:21], v[72:73]
	v_fma_f64 v[20:21], v[98:99], s[28:29], v[22:23]
	v_fma_f64 v[22:23], v[98:99], s[28:29], -v[22:23]
	v_add_f64 v[18:19], v[18:19], v[70:71]
	v_add_f64 v[20:21], v[20:21], v[74:75]
	buffer_load_dword v75, off, s[60:63], 0 offset:24 ; 4-byte Folded Reload
	s_waitcnt vmcnt(1)
	v_and_b32_e32 v70, 0xffff, v0
	v_add_f64 v[22:23], v[22:23], v[86:87]
	v_mad_u32_u24 v71, 0x3b8, v70, 0
	v_mov_b32_e32 v70, 3
	v_lshlrev_b32_sdwa v72, v70, v229 dst_sel:DWORD dst_unused:UNUSED_PAD src0_sel:DWORD src1_sel:BYTE_0
	s_waitcnt vmcnt(0)
	v_add3_u32 v123, v71, v72, v75
	ds_write2_b64 v123, v[10:11], v[80:81] offset1:7
	ds_write2_b64 v123, v[82:83], v[84:85] offset0:14 offset1:21
	ds_write2_b64 v123, v[76:77], v[78:79] offset0:28 offset1:35
	;; [unrolled: 1-line block ×7, first 2 shown]
	ds_write_b64 v123, v[192:193] offset:896
	v_and_b32_e32 v10, 0xffff, v115
	v_lshlrev_b32_sdwa v11, v70, v126 dst_sel:DWORD dst_unused:UNUSED_PAD src0_sel:DWORD src1_sel:BYTE_0
	v_mad_u32_u24 v10, 0x3b8, v10, 0
	v_add3_u32 v124, v10, v11, v75
	ds_write2_b64 v124, v[24:25], v[188:189] offset1:7
	ds_write2_b64 v124, v[34:35], v[180:181] offset0:14 offset1:21
	ds_write2_b64 v124, v[30:31], v[32:33] offset0:28 offset1:35
	;; [unrolled: 1-line block ×7, first 2 shown]
	ds_write_b64 v124, v[2:3] offset:896
	s_and_saveexec_b32 s1, s0
	s_cbranch_execz .LBB0_18
; %bb.17:
	s_clause 0x3
	buffer_load_dword v2, off, s[60:63], 0 offset:56
	buffer_load_dword v3, off, s[60:63], 0 offset:60
	;; [unrolled: 1-line block ×4, first 2 shown]
	v_mov_b32_e32 v183, v165
	v_mov_b32_e32 v182, v164
	;; [unrolled: 1-line block ×5, first 2 shown]
	s_clause 0x1
	buffer_load_dword v156, off, s[60:63], 0 offset:272
	buffer_load_dword v157, off, s[60:63], 0 offset:276
	v_mov_b32_e32 v178, v158
	s_clause 0x1
	buffer_load_dword v158, off, s[60:63], 0 offset:280
	buffer_load_dword v159, off, s[60:63], 0 offset:284
	v_mov_b32_e32 v140, v170
	v_mov_b32_e32 v141, v171
	;; [unrolled: 1-line block ×18, first 2 shown]
	s_waitcnt vmcnt(4)
	v_add_f64 v[6:7], v[6:7], -v[2:3]
	s_waitcnt vmcnt(0)
	v_add_f64 v[2:3], v[156:157], v[158:159]
	v_mul_f64 v[62:63], v[6:7], s[30:31]
	v_mul_f64 v[66:67], v[6:7], s[26:27]
	v_fma_f64 v[8:9], v[2:3], s[40:41], v[62:63]
	v_fma_f64 v[62:63], v[2:3], s[40:41], -v[62:63]
	v_add_f64 v[12:13], v[4:5], v[8:9]
	s_clause 0x7
	buffer_load_dword v8, off, s[60:63], 0 offset:88
	buffer_load_dword v9, off, s[60:63], 0 offset:92
	;; [unrolled: 1-line block ×8, first 2 shown]
	v_add_f64 v[62:63], v[4:5], v[62:63]
	s_waitcnt vmcnt(4)
	v_add_f64 v[10:11], v[8:9], -v[10:11]
	s_waitcnt vmcnt(0)
	v_add_f64 v[8:9], v[204:205], v[148:149]
	v_mul_f64 v[64:65], v[10:11], s[48:49]
	v_mul_f64 v[68:69], v[10:11], s[44:45]
	;; [unrolled: 1-line block ×3, first 2 shown]
	v_fma_f64 v[14:15], v[8:9], s[20:21], v[64:65]
	v_fma_f64 v[16:17], v[8:9], s[34:35], v[68:69]
	v_fma_f64 v[64:65], v[8:9], s[20:21], -v[64:65]
	v_fma_f64 v[108:109], v[8:9], s[28:29], -v[106:107]
	v_add_f64 v[14:15], v[14:15], v[12:13]
	v_fma_f64 v[12:13], v[2:3], s[38:39], v[66:67]
	v_add_f64 v[62:63], v[64:65], v[62:63]
	v_fma_f64 v[64:65], v[2:3], s[38:39], -v[66:67]
	v_fma_f64 v[66:67], v[8:9], s[34:35], -v[68:69]
	v_add_f64 v[12:13], v[4:5], v[12:13]
	v_add_f64 v[64:65], v[4:5], v[64:65]
	;; [unrolled: 1-line block ×3, first 2 shown]
	s_clause 0x7
	buffer_load_dword v12, off, s[60:63], 0 offset:80
	buffer_load_dword v13, off, s[60:63], 0 offset:84
	buffer_load_dword v18, off, s[60:63], 0 offset:184
	buffer_load_dword v19, off, s[60:63], 0 offset:188
	buffer_load_dword v206, off, s[60:63], 0 offset:112
	buffer_load_dword v207, off, s[60:63], 0 offset:116
	buffer_load_dword v44, off, s[60:63], 0 offset:256
	buffer_load_dword v45, off, s[60:63], 0 offset:260
	v_add_f64 v[64:65], v[66:67], v[64:65]
	s_waitcnt vmcnt(4)
	v_add_f64 v[18:19], v[12:13], -v[18:19]
	s_waitcnt vmcnt(0)
	v_add_f64 v[12:13], v[206:207], v[44:45]
	v_mul_f64 v[76:77], v[18:19], s[22:23]
	v_mul_f64 v[78:79], v[18:19], s[6:7]
	v_fma_f64 v[20:21], v[12:13], s[28:29], v[76:77]
	v_fma_f64 v[66:67], v[12:13], s[28:29], -v[76:77]
	v_add_f64 v[20:21], v[20:21], v[14:15]
	v_fma_f64 v[14:15], v[12:13], s[8:9], v[78:79]
	v_add_f64 v[62:63], v[66:67], v[62:63]
	v_fma_f64 v[66:67], v[12:13], s[8:9], -v[78:79]
	v_add_f64 v[22:23], v[14:15], v[16:17]
	s_clause 0x7
	buffer_load_dword v14, off, s[60:63], 0 offset:72
	buffer_load_dword v15, off, s[60:63], 0 offset:76
	buffer_load_dword v16, off, s[60:63], 0 offset:200
	buffer_load_dword v17, off, s[60:63], 0 offset:204
	buffer_load_dword v208, off, s[60:63], 0 offset:120
	buffer_load_dword v209, off, s[60:63], 0 offset:124
	buffer_load_dword v152, off, s[60:63], 0 offset:248
	buffer_load_dword v153, off, s[60:63], 0 offset:252
	v_add_f64 v[64:65], v[66:67], v[64:65]
	s_waitcnt vmcnt(4)
	v_add_f64 v[16:17], v[14:15], -v[16:17]
	s_waitcnt vmcnt(0)
	v_add_f64 v[14:15], v[208:209], v[152:153]
	v_mul_f64 v[80:81], v[16:17], s[56:57]
	v_mul_f64 v[82:83], v[16:17], s[30:31]
	v_fma_f64 v[24:25], v[14:15], s[38:39], v[80:81]
	v_fma_f64 v[66:67], v[14:15], s[38:39], -v[80:81]
	v_add_f64 v[24:25], v[24:25], v[20:21]
	v_fma_f64 v[20:21], v[14:15], s[40:41], v[82:83]
	v_add_f64 v[62:63], v[66:67], v[62:63]
	v_fma_f64 v[66:67], v[14:15], s[40:41], -v[82:83]
	v_add_f64 v[26:27], v[20:21], v[22:23]
	;; [unrolled: 23-line block ×5, first 2 shown]
	s_clause 0x8
	buffer_load_dword v30, off, s[60:63], 0 offset:40
	buffer_load_dword v31, off, s[60:63], 0 offset:44
	;; [unrolled: 1-line block ×9, first 2 shown]
	v_add_f64 v[64:65], v[66:67], v[64:65]
	s_waitcnt vmcnt(5)
	v_add_f64 v[34:35], v[30:31], -v[34:35]
	s_waitcnt vmcnt(1)
	v_add_f64 v[30:31], v[130:131], v[198:199]
	s_waitcnt vmcnt(0)
	v_lshlrev_b32_sdwa v70, v70, v0 dst_sel:DWORD dst_unused:UNUSED_PAD src0_sel:DWORD src1_sel:BYTE_0
	v_add3_u32 v125, 0, v70, v75
	v_add_nc_u32_e32 v126, 0x1000, v125
	v_mul_f64 v[246:247], v[34:35], s[24:25]
	v_mul_f64 v[248:249], v[34:35], s[48:49]
	v_fma_f64 v[86:87], v[30:31], s[34:35], v[246:247]
	v_fma_f64 v[66:67], v[30:31], s[34:35], -v[246:247]
	v_add_f64 v[250:251], v[86:87], v[71:72]
	v_fma_f64 v[71:72], v[30:31], s[20:21], v[248:249]
	v_add_f64 v[62:63], v[66:67], v[62:63]
	v_fma_f64 v[66:67], v[30:31], s[20:21], -v[248:249]
	v_add_f64 v[252:253], v[71:72], v[73:74]
	v_mul_f64 v[70:71], v[6:7], s[36:37]
	v_mul_f64 v[74:75], v[10:11], s[50:51]
	v_add_f64 v[64:65], v[66:67], v[64:65]
	v_mul_f64 v[66:67], v[10:11], s[46:47]
	ds_write2_b64 v126, v[252:253], v[250:251] offset0:6 offset1:13
	v_fma_f64 v[72:73], v[2:3], s[42:43], -v[70:71]
	v_fma_f64 v[70:71], v[2:3], s[42:43], v[70:71]
	v_fma_f64 v[86:87], v[8:9], s[8:9], -v[74:75]
	v_fma_f64 v[74:75], v[8:9], s[8:9], v[74:75]
	ds_write2_b64 v126, v[62:63], v[64:65] offset0:34 offset1:41
	v_mul_f64 v[62:63], v[6:7], s[24:25]
	v_fma_f64 v[68:69], v[8:9], s[40:41], -v[66:67]
	v_add_f64 v[72:73], v[4:5], v[72:73]
	v_add_f64 v[70:71], v[4:5], v[70:71]
	v_fma_f64 v[64:65], v[2:3], s[34:35], -v[62:63]
	v_fma_f64 v[62:63], v[2:3], s[34:35], v[62:63]
	v_add_f64 v[72:73], v[86:87], v[72:73]
	v_add_f64 v[70:71], v[74:75], v[70:71]
	v_mul_f64 v[74:75], v[18:19], s[30:31]
	v_add_f64 v[64:65], v[4:5], v[64:65]
	v_add_f64 v[62:63], v[4:5], v[62:63]
	v_fma_f64 v[86:87], v[12:13], s[40:41], -v[74:75]
	v_fma_f64 v[74:75], v[12:13], s[40:41], v[74:75]
	v_add_f64 v[64:65], v[68:69], v[64:65]
	v_mul_f64 v[68:69], v[6:7], s[22:23]
	v_add_f64 v[72:73], v[86:87], v[72:73]
	v_add_f64 v[70:71], v[74:75], v[70:71]
	v_mul_f64 v[74:75], v[16:17], s[54:55]
	v_fma_f64 v[86:87], v[14:15], s[18:19], -v[74:75]
	v_fma_f64 v[74:75], v[14:15], s[18:19], v[74:75]
	v_add_f64 v[72:73], v[86:87], v[72:73]
	v_add_f64 v[70:71], v[74:75], v[70:71]
	v_mul_f64 v[74:75], v[22:23], s[26:27]
	v_fma_f64 v[86:87], v[20:21], s[38:39], -v[74:75]
	v_fma_f64 v[74:75], v[20:21], s[38:39], v[74:75]
	;; [unrolled: 5-line block ×5, first 2 shown]
	v_add_f64 v[72:73], v[86:87], v[72:73]
	v_add_f64 v[70:71], v[74:75], v[70:71]
	ds_write2_b64 v126, v[70:71], v[72:73] offset0:20 offset1:27
	v_fma_f64 v[70:71], v[2:3], s[28:29], -v[68:69]
	v_mul_f64 v[72:73], v[10:11], s[36:37]
	v_add_f64 v[70:71], v[4:5], v[70:71]
	v_fma_f64 v[74:75], v[8:9], s[42:43], -v[72:73]
	v_add_f64 v[70:71], v[74:75], v[70:71]
	v_mul_f64 v[74:75], v[18:19], s[54:55]
	v_fma_f64 v[76:77], v[12:13], s[18:19], -v[74:75]
	v_add_f64 v[64:65], v[76:77], v[64:65]
	v_mul_f64 v[76:77], v[18:19], s[44:45]
	v_fma_f64 v[78:79], v[12:13], s[34:35], -v[76:77]
	v_add_f64 v[70:71], v[78:79], v[70:71]
	v_mul_f64 v[78:79], v[16:17], s[16:17]
	v_fma_f64 v[80:81], v[14:15], s[20:21], -v[78:79]
	v_add_f64 v[64:65], v[80:81], v[64:65]
	v_mul_f64 v[80:81], v[16:17], s[50:51]
	v_fma_f64 v[82:83], v[14:15], s[8:9], -v[80:81]
	v_add_f64 v[70:71], v[82:83], v[70:71]
	v_mul_f64 v[82:83], v[22:23], s[36:37]
	v_fma_f64 v[84:85], v[20:21], s[42:43], -v[82:83]
	v_add_f64 v[64:65], v[84:85], v[64:65]
	v_mul_f64 v[84:85], v[22:23], s[16:17]
	v_fma_f64 v[86:87], v[20:21], s[20:21], -v[84:85]
	v_add_f64 v[70:71], v[86:87], v[70:71]
	v_mul_f64 v[86:87], v[28:29], s[58:59]
	v_fma_f64 v[88:89], v[24:25], s[28:29], -v[86:87]
	v_add_f64 v[64:65], v[88:89], v[64:65]
	v_mul_f64 v[88:89], v[28:29], s[30:31]
	v_fma_f64 v[90:91], v[24:25], s[40:41], -v[88:89]
	v_add_f64 v[70:71], v[90:91], v[70:71]
	v_mul_f64 v[90:91], v[32:33], s[6:7]
	v_fma_f64 v[94:95], v[26:27], s[8:9], -v[90:91]
	v_add_f64 v[64:65], v[94:95], v[64:65]
	v_mul_f64 v[94:95], v[32:33], s[56:57]
	v_fma_f64 v[96:97], v[26:27], s[38:39], -v[94:95]
	v_add_f64 v[70:71], v[96:97], v[70:71]
	v_mul_f64 v[96:97], v[34:35], s[26:27]
	v_fma_f64 v[98:99], v[30:31], s[38:39], -v[96:97]
	v_add_f64 v[64:65], v[98:99], v[64:65]
	v_mul_f64 v[98:99], v[34:35], s[54:55]
	v_fma_f64 v[100:101], v[30:31], s[18:19], -v[98:99]
	v_add_f64 v[70:71], v[100:101], v[70:71]
	v_mul_f64 v[100:101], v[10:11], s[26:27]
	v_mul_f64 v[10:11], v[10:11], s[14:15]
	ds_write2_b64 v126, v[64:65], v[70:71] offset0:48 offset1:55
	v_mul_f64 v[64:65], v[6:7], s[16:17]
	v_fma_f64 v[102:103], v[8:9], s[38:39], -v[100:101]
	v_fma_f64 v[70:71], v[2:3], s[20:21], -v[64:65]
	v_fma_f64 v[64:65], v[2:3], s[20:21], v[64:65]
	v_add_f64 v[70:71], v[4:5], v[70:71]
	v_add_f64 v[64:65], v[4:5], v[64:65]
	;; [unrolled: 1-line block ×3, first 2 shown]
	v_mul_f64 v[102:103], v[6:7], s[14:15]
	v_mul_f64 v[6:7], v[6:7], s[6:7]
	v_fma_f64 v[104:105], v[2:3], s[18:19], -v[102:103]
	v_add_f64 v[104:105], v[4:5], v[104:105]
	v_add_f64 v[104:105], v[108:109], v[104:105]
	v_mul_f64 v[108:109], v[18:19], s[52:53]
	v_fma_f64 v[110:111], v[12:13], s[42:43], -v[108:109]
	v_add_f64 v[70:71], v[110:111], v[70:71]
	v_mul_f64 v[110:111], v[18:19], s[26:27]
	v_fma_f64 v[112:113], v[12:13], s[38:39], -v[110:111]
	;; [unrolled: 3-line block ×12, first 2 shown]
	v_add_f64 v[104:105], v[202:203], v[104:105]
	ds_write2_b64 v126, v[70:71], v[104:105] offset0:62 offset1:69
	v_fma_f64 v[70:71], v[8:9], s[38:39], v[100:101]
	v_fma_f64 v[100:101], v[8:9], s[28:29], v[106:107]
	v_add_f64 v[64:65], v[70:71], v[64:65]
	v_fma_f64 v[70:71], v[12:13], s[42:43], v[108:109]
	v_add_f64 v[64:65], v[70:71], v[64:65]
	;; [unrolled: 2-line block ×7, first 2 shown]
	v_fma_f64 v[70:71], v[2:3], s[18:19], v[102:103]
	v_mov_b32_e32 v102, v162
	v_mov_b32_e32 v103, v163
	v_add_f64 v[70:71], v[4:5], v[70:71]
	v_add_f64 v[70:71], v[100:101], v[70:71]
	v_fma_f64 v[100:101], v[12:13], s[38:39], v[110:111]
	v_add_f64 v[70:71], v[100:101], v[70:71]
	v_fma_f64 v[100:101], v[14:15], s[42:43], v[114:115]
	;; [unrolled: 2-line block ×6, first 2 shown]
	v_add_f64 v[70:71], v[100:101], v[70:71]
	v_add_nc_u32_e32 v100, 0x800, v125
	ds_write2_b64 v100, v[70:71], v[64:65] offset0:234 offset1:241
	v_fma_f64 v[64:65], v[8:9], s[40:41], v[66:67]
	v_fma_f64 v[66:67], v[8:9], s[42:43], v[72:73]
	v_add_f64 v[62:63], v[64:65], v[62:63]
	v_fma_f64 v[64:65], v[12:13], s[18:19], v[74:75]
	v_add_f64 v[62:63], v[64:65], v[62:63]
	;; [unrolled: 2-line block ×8, first 2 shown]
	v_add_f64 v[64:65], v[66:67], v[64:65]
	v_fma_f64 v[66:67], v[12:13], s[34:35], v[76:77]
	v_add_f64 v[64:65], v[66:67], v[64:65]
	v_fma_f64 v[66:67], v[14:15], s[8:9], v[80:81]
	;; [unrolled: 2-line block ×6, first 2 shown]
	v_add_f64 v[64:65], v[66:67], v[64:65]
	ds_write2_b64 v100, v[64:65], v[62:63] offset0:248 offset1:255
	v_fma_f64 v[62:63], v[2:3], s[8:9], v[6:7]
	v_fma_f64 v[2:3], v[2:3], s[8:9], -v[6:7]
	v_fma_f64 v[64:65], v[8:9], s[18:19], v[10:11]
	v_mul_f64 v[6:7], v[18:19], s[16:17]
	v_fma_f64 v[8:9], v[8:9], s[18:19], -v[10:11]
	v_add_f64 v[62:63], v[4:5], v[62:63]
	v_add_f64 v[2:3], v[4:5], v[2:3]
	;; [unrolled: 1-line block ×3, first 2 shown]
	v_fma_f64 v[18:19], v[12:13], s[20:21], v[6:7]
	v_fma_f64 v[6:7], v[12:13], s[20:21], -v[6:7]
	v_mov_b32_e32 v156, v164
	v_mov_b32_e32 v157, v165
	;; [unrolled: 1-line block ×4, first 2 shown]
	v_add_f64 v[62:63], v[64:65], v[62:63]
	v_add_f64 v[2:3], v[8:9], v[2:3]
	;; [unrolled: 1-line block ×3, first 2 shown]
	v_mul_f64 v[8:9], v[16:17], s[22:23]
	v_add_f64 v[18:19], v[18:19], v[62:63]
	v_add_f64 v[2:3], v[6:7], v[2:3]
	v_add_f64 v[4:5], v[4:5], v[206:207]
	v_fma_f64 v[10:11], v[14:15], s[28:29], v[8:9]
	v_fma_f64 v[8:9], v[14:15], s[28:29], -v[8:9]
	v_mul_f64 v[6:7], v[22:23], s[24:25]
	v_add_f64 v[4:5], v[4:5], v[208:209]
	v_add_f64 v[10:11], v[10:11], v[18:19]
	v_add_f64 v[2:3], v[8:9], v[2:3]
	v_fma_f64 v[12:13], v[20:21], s[34:35], v[6:7]
	v_fma_f64 v[6:7], v[20:21], s[34:35], -v[6:7]
	;; [unrolled: 6-line block ×3, first 2 shown]
	v_mul_f64 v[6:7], v[32:33], s[30:31]
	v_add_f64 v[4:5], v[4:5], v[40:41]
	v_mov_b32_e32 v40, v160
	v_mov_b32_e32 v41, v161
	;; [unrolled: 1-line block ×4, first 2 shown]
	v_add_f64 v[10:11], v[12:13], v[10:11]
	v_add_f64 v[2:3], v[8:9], v[2:3]
	v_fma_f64 v[12:13], v[26:27], s[40:41], v[6:7]
	v_mul_f64 v[8:9], v[34:35], s[36:37]
	v_fma_f64 v[6:7], v[26:27], s[40:41], -v[6:7]
	v_add_f64 v[4:5], v[4:5], v[52:53]
	v_add_f64 v[10:11], v[12:13], v[10:11]
	v_fma_f64 v[12:13], v[30:31], s[42:43], v[8:9]
	v_fma_f64 v[8:9], v[30:31], s[42:43], -v[8:9]
	v_add_f64 v[2:3], v[6:7], v[2:3]
	v_add_f64 v[4:5], v[4:5], v[130:131]
	;; [unrolled: 1-line block ×6, first 2 shown]
	v_mov_b32_e32 v36, v48
	v_mov_b32_e32 v37, v49
	v_add_f64 v[4:5], v[4:5], v[142:143]
	v_mov_b32_e32 v143, v39
	v_mov_b32_e32 v142, v38
	v_add_f64 v[4:5], v[4:5], v[56:57]
	v_add_f64 v[4:5], v[4:5], v[152:153]
	v_mov_b32_e32 v152, v174
	v_mov_b32_e32 v153, v175
	v_add_f64 v[4:5], v[4:5], v[44:45]
	v_mov_b32_e32 v44, v144
	v_mov_b32_e32 v45, v145
	v_add_f64 v[4:5], v[4:5], v[148:149]
	v_mov_b32_e32 v148, v170
	v_mov_b32_e32 v149, v171
	v_mov_b32_e32 v171, v141
	v_mov_b32_e32 v170, v140
	v_add_f64 v[4:5], v[4:5], v[158:159]
	v_mov_b32_e32 v158, v178
	v_mov_b32_e32 v159, v179
	ds_write2_b64 v100, v[4:5], v[10:11] offset0:220 offset1:227
	ds_write_b64 v125, v[2:3] offset:4704
.LBB0_18:
	s_or_b32 exec_lo, exec_lo, s1
	s_clause 0x3
	buffer_load_dword v0, off, s[60:63], 0 offset:532
	buffer_load_dword v1, off, s[60:63], 0 offset:536
	;; [unrolled: 1-line block ×4, first 2 shown]
	v_mov_b32_e32 v49, v37
	v_mov_b32_e32 v48, v36
	v_add_f64 v[72:73], v[92:93], -v[150:151]
	s_waitcnt vmcnt(2)
	v_add_f64 v[2:3], v[210:211], v[0:1]
	v_add_f64 v[4:5], v[0:1], v[40:41]
	s_clause 0x5
	buffer_load_dword v0, off, s[60:63], 0 offset:524
	buffer_load_dword v1, off, s[60:63], 0 offset:528
	;; [unrolled: 1-line block ×6, first 2 shown]
	s_waitcnt vmcnt(6)
	v_add_f64 v[6:7], v[14:15], v[48:49]
	v_add_f64 v[2:3], v[2:3], v[14:15]
	v_mul_f64 v[14:15], v[4:5], s[8:9]
	v_mul_f64 v[16:17], v[4:5], s[18:19]
	;; [unrolled: 1-line block ×16, first 2 shown]
	s_waitcnt vmcnt(2)
	v_add_f64 v[8:9], v[0:1], -v[8:9]
	s_clause 0x3
	buffer_load_dword v0, off, s[60:63], 0 offset:496
	buffer_load_dword v1, off, s[60:63], 0 offset:500
	buffer_load_dword v12, off, s[60:63], 0 offset:540
	buffer_load_dword v13, off, s[60:63], 0 offset:544
	s_waitcnt vmcnt(4)
	v_add_f64 v[2:3], v[2:3], v[38:39]
	v_add_f64 v[10:11], v[38:39], v[44:45]
	v_fma_f64 v[82:83], v[8:9], s[50:51], v[14:15]
	v_fma_f64 v[84:85], v[8:9], s[54:55], v[16:17]
	;; [unrolled: 1-line block ×7, first 2 shown]
	v_mul_f64 v[76:77], v[10:11], s[38:39]
	v_fma_f64 v[14:15], v[8:9], s[6:7], v[14:15]
	v_fma_f64 v[20:21], v[8:9], s[22:23], v[20:21]
	;; [unrolled: 1-line block ×9, first 2 shown]
	v_mul_f64 v[196:197], v[10:11], s[8:9]
	v_mul_f64 v[78:79], v[10:11], s[42:43]
	v_mul_f64 v[200:201], v[10:11], s[28:29]
	v_mul_f64 v[74:75], v[10:11], s[20:21]
	v_mul_f64 v[80:81], v[10:11], s[34:35]
	v_mul_f64 v[120:121], v[10:11], s[18:19]
	v_mul_f64 v[202:203], v[10:11], s[40:41]
	v_add_f64 v[16:17], v[210:211], v[16:17]
	v_add_f64 v[18:19], v[210:211], v[18:19]
	;; [unrolled: 1-line block ×9, first 2 shown]
	s_waitcnt vmcnt(0)
	v_add_f64 v[12:13], v[0:1], -v[12:13]
	s_clause 0x3
	buffer_load_dword v0, off, s[60:63], 0 offset:516
	buffer_load_dword v1, off, s[60:63], 0 offset:520
	;; [unrolled: 1-line block ×4, first 2 shown]
	v_fma_f64 v[98:99], v[12:13], s[58:59], v[30:31]
	v_fma_f64 v[30:31], v[12:13], s[22:23], v[30:31]
	;; [unrolled: 1-line block ×15, first 2 shown]
	v_add_f64 v[118:119], v[28:29], v[14:15]
	v_add_f64 v[26:27], v[62:63], v[20:21]
	;; [unrolled: 1-line block ×5, first 2 shown]
	s_waitcnt vmcnt(2)
	v_add_f64 v[34:35], v[0:1], -v[154:155]
	v_mov_b32_e32 v0, v102
	v_mov_b32_e32 v1, v103
	s_waitcnt vmcnt(0)
	v_add_f64 v[2:3], v[2:3], v[36:37]
	v_fma_f64 v[102:103], v[12:13], s[26:27], v[32:33]
	v_add_f64 v[32:33], v[210:211], v[82:83]
	v_add_f64 v[82:83], v[210:211], v[84:85]
	;; [unrolled: 1-line block ×3, first 2 shown]
	s_clause 0x1
	buffer_load_dword v36, off, s[60:63], 0 offset:448
	buffer_load_dword v37, off, s[60:63], 0 offset:452
	v_add_f64 v[12:13], v[210:211], v[86:87]
	v_add_f64 v[86:87], v[210:211], v[88:89]
	;; [unrolled: 1-line block ×5, first 2 shown]
	v_fma_f64 v[114:115], v[34:35], s[56:57], v[76:77]
	v_fma_f64 v[76:77], v[34:35], s[26:27], v[76:77]
	;; [unrolled: 1-line block ×3, first 2 shown]
	v_add_f64 v[2:3], v[2:3], v[224:225]
	v_fma_f64 v[180:181], v[34:35], s[36:37], v[78:79]
	v_fma_f64 v[188:189], v[34:35], s[52:53], v[78:79]
	v_add_f64 v[82:83], v[98:99], v[82:83]
	v_add_f64 v[98:99], v[30:31], v[16:17]
	;; [unrolled: 1-line block ×3, first 2 shown]
	v_fma_f64 v[78:79], v[34:35], s[58:59], v[200:201]
	v_fma_f64 v[64:65], v[34:35], s[22:23], v[200:201]
	v_add_f64 v[24:25], v[106:107], v[88:89]
	v_add_f64 v[106:107], v[218:219], v[142:143]
	v_fma_f64 v[84:85], v[34:35], s[48:49], v[74:75]
	v_add_f64 v[8:9], v[8:9], v[32:33]
	v_mul_f64 v[204:205], v[70:71], s[28:29]
	v_fma_f64 v[74:75], v[34:35], s[16:17], v[74:75]
	v_add_f64 v[18:19], v[66:67], v[92:93]
	v_fma_f64 v[192:193], v[34:35], s[24:25], v[80:81]
	v_fma_f64 v[66:67], v[34:35], s[46:47], v[202:203]
	;; [unrolled: 1-line block ×3, first 2 shown]
	v_add_f64 v[32:33], v[100:101], v[12:13]
	v_add_f64 v[28:29], v[104:105], v[86:87]
	;; [unrolled: 1-line block ×5, first 2 shown]
	v_mul_f64 v[86:87], v[70:71], s[42:43]
	v_mul_f64 v[88:89], v[70:71], s[34:35]
	v_add_f64 v[4:5], v[114:115], v[82:83]
	v_add_f64 v[2:3], v[76:77], v[98:99]
	v_fma_f64 v[76:77], v[34:35], s[6:7], v[196:197]
	v_fma_f64 v[82:83], v[34:35], s[14:15], v[120:121]
	v_mul_f64 v[90:91], v[70:71], s[8:9]
	v_mul_f64 v[92:93], v[70:71], s[20:21]
	;; [unrolled: 1-line block ×6, first 2 shown]
	v_add_f64 v[8:9], v[84:85], v[8:9]
	v_fma_f64 v[84:85], v[34:35], s[44:45], v[80:81]
	v_fma_f64 v[80:81], v[34:35], s[54:55], v[120:121]
	;; [unrolled: 1-line block ×3, first 2 shown]
	v_mul_f64 v[202:203], v[106:107], s[40:41]
	v_mul_f64 v[130:131], v[106:107], s[20:21]
	v_add_f64 v[6:7], v[74:75], v[118:119]
	v_add_f64 v[74:75], v[224:225], v[170:171]
	v_mul_f64 v[96:97], v[70:71], s[40:41]
	v_add_f64 v[16:17], v[110:111], v[94:95]
	v_mul_f64 v[98:99], v[70:71], s[38:39]
	v_mul_f64 v[100:101], v[70:71], s[18:19]
	v_fma_f64 v[70:71], v[72:73], s[52:53], v[86:87]
	v_fma_f64 v[94:95], v[72:73], s[36:37], v[86:87]
	;; [unrolled: 1-line block ×8, first 2 shown]
	v_mul_f64 v[150:151], v[106:107], s[38:39]
	v_add_f64 v[30:31], v[188:189], v[30:31]
	v_add_f64 v[24:25], v[82:83], v[24:25]
	;; [unrolled: 1-line block ×8, first 2 shown]
	v_mul_f64 v[104:105], v[74:75], s[34:35]
	v_mul_f64 v[108:109], v[74:75], s[40:41]
	;; [unrolled: 1-line block ×3, first 2 shown]
	v_fma_f64 v[86:87], v[72:73], s[46:47], v[96:97]
	v_mul_f64 v[90:91], v[74:75], s[20:21]
	v_fma_f64 v[92:93], v[72:73], s[30:31], v[96:97]
	v_mul_f64 v[96:97], v[74:75], s[42:43]
	v_mul_f64 v[114:115], v[74:75], s[28:29]
	;; [unrolled: 1-line block ×4, first 2 shown]
	v_fma_f64 v[120:121], v[72:73], s[26:27], v[98:99]
	v_fma_f64 v[224:225], v[72:73], s[56:57], v[98:99]
	;; [unrolled: 1-line block ×4, first 2 shown]
	v_add_f64 v[16:17], v[78:79], v[16:17]
	v_add_f64 v[24:25], v[252:253], v[24:25]
	;; [unrolled: 1-line block ×19, first 2 shown]
	s_waitcnt vmcnt(0)
	v_add_f64 v[102:103], v[36:37], -v[134:135]
	s_clause 0x3
	buffer_load_dword v36, off, s[60:63], 0 offset:440
	buffer_load_dword v37, off, s[60:63], 0 offset:444
	;; [unrolled: 1-line block ×4, first 2 shown]
	v_fma_f64 v[134:135], v[72:73], s[22:23], v[204:205]
	v_mul_f64 v[204:205], v[106:107], s[28:29]
	v_fma_f64 v[240:241], v[102:103], s[24:25], v[104:105]
	v_fma_f64 v[232:233], v[102:103], s[44:45], v[104:105]
	v_add_f64 v[6:7], v[134:135], v[6:7]
	v_fma_f64 v[98:99], v[102:103], s[30:31], v[108:109]
	v_fma_f64 v[104:105], v[102:103], s[46:47], v[108:109]
	;; [unrolled: 1-line block ×14, first 2 shown]
	v_add_f64 v[8:9], v[232:233], v[8:9]
	v_add_f64 v[6:7], v[240:241], v[6:7]
	;; [unrolled: 1-line block ×16, first 2 shown]
	s_waitcnt vmcnt(0)
	v_add_f64 v[138:139], v[36:37], -v[38:39]
	s_clause 0x1
	buffer_load_dword v36, off, s[60:63], 0 offset:432
	buffer_load_dword v37, off, s[60:63], 0 offset:436
	v_fma_f64 v[248:249], v[138:139], s[24:25], v[196:197]
	v_fma_f64 v[250:251], v[138:139], s[44:45], v[196:197]
	s_clause 0x4
	buffer_load_dword v196, off, s[60:63], 0 offset:24
	buffer_load_dword v38, off, s[60:63], 0 offset:416
	;; [unrolled: 1-line block ×5, first 2 shown]
	v_fma_f64 v[208:209], v[138:139], s[50:51], v[200:201]
	v_fma_f64 v[210:211], v[138:139], s[6:7], v[200:201]
	;; [unrolled: 1-line block ×14, first 2 shown]
	v_add_f64 v[138:139], v[194:195], v[146:147]
	v_add_f64 v[4:5], v[248:249], v[4:5]
	v_add_f64 v[2:3], v[250:251], v[2:3]
	v_add_f64 v[32:33], v[208:209], v[32:33]
	v_add_f64 v[30:31], v[210:211], v[30:31]
	v_add_f64 v[20:21], v[220:221], v[20:21]
	v_add_f64 v[18:19], v[222:223], v[18:19]
	v_add_f64 v[16:17], v[206:207], v[16:17]
	v_add_f64 v[14:15], v[200:201], v[14:15]
	v_add_f64 v[28:29], v[212:213], v[28:29]
	v_add_f64 v[26:27], v[214:215], v[26:27]
	v_add_f64 v[24:25], v[216:217], v[24:25]
	v_add_f64 v[22:23], v[218:219], v[22:23]
	v_add_f64 v[12:13], v[202:203], v[12:13]
	v_add_f64 v[10:11], v[204:205], v[10:11]
	v_add_f64 v[8:9], v[102:103], v[8:9]
	v_add_f64 v[6:7], v[108:109], v[6:7]
	s_waitcnt vmcnt(5)
	v_add_f64 v[125:126], v[198:199], v[36:37]
	v_add_f64 v[125:126], v[125:126], v[190:191]
	s_waitcnt vmcnt(2)
	v_add_f64 v[178:179], v[190:191], v[38:39]
	s_waitcnt vmcnt(0)
	v_add_f64 v[60:61], v[36:37], v[52:53]
	v_add_f64 v[125:126], v[125:126], v[38:39]
	v_mul_f64 v[76:77], v[178:179], s[8:9]
	v_mul_f64 v[84:85], v[60:61], s[8:9]
	;; [unrolled: 1-line block ×10, first 2 shown]
	v_add_f64 v[125:126], v[125:126], v[52:53]
	s_clause 0x3
	buffer_load_dword v36, off, s[60:63], 0 offset:392
	buffer_load_dword v37, off, s[60:63], 0 offset:396
	;; [unrolled: 1-line block ×4, first 2 shown]
	v_add_f64 v[56:57], v[125:126], v[142:143]
	v_mul_f64 v[125:126], v[60:61], s[38:39]
	s_waitcnt vmcnt(0)
	v_add_f64 v[130:131], v[36:37], -v[52:53]
	s_clause 0x5
	buffer_load_dword v36, off, s[60:63], 0 offset:368
	buffer_load_dword v37, off, s[60:63], 0 offset:372
	;; [unrolled: 1-line block ×6, first 2 shown]
	v_add_f64 v[52:53], v[56:57], v[170:171]
	v_fma_f64 v[86:87], v[130:131], s[50:51], v[84:85]
	v_fma_f64 v[72:73], v[130:131], s[14:15], v[80:81]
	;; [unrolled: 1-line block ×3, first 2 shown]
	v_add_f64 v[52:53], v[52:53], v[0:1]
	v_mov_b32_e32 v0, v176
	v_mov_b32_e32 v1, v177
	v_fma_f64 v[134:135], v[130:131], s[58:59], v[154:155]
	v_fma_f64 v[70:71], v[130:131], s[26:27], v[125:126]
	;; [unrolled: 1-line block ×5, first 2 shown]
	v_add_f64 v[24:25], v[86:87], v[24:25]
	v_add_f64 v[16:17], v[72:73], v[16:17]
	;; [unrolled: 1-line block ×10, first 2 shown]
	s_waitcnt vmcnt(2)
	v_add_f64 v[186:187], v[36:37], -v[38:39]
	s_clause 0xd
	buffer_load_dword v38, off, s[60:63], 0 offset:312
	buffer_load_dword v39, off, s[60:63], 0 offset:316
	;; [unrolled: 1-line block ×14, first 2 shown]
	s_waitcnt vmcnt(14)
	v_add_f64 v[138:139], v[138:139], v[144:145]
	v_fma_f64 v[90:91], v[186:187], s[6:7], v[76:77]
	v_fma_f64 v[76:77], v[186:187], s[50:51], v[76:77]
	;; [unrolled: 1-line block ×7, first 2 shown]
	v_add_f64 v[180:181], v[90:91], v[4:5]
	v_mul_f64 v[4:5], v[178:179], s[28:29]
	v_add_f64 v[182:183], v[34:35], v[32:33]
	s_waitcnt vmcnt(12)
	v_add_f64 v[138:139], v[138:139], v[38:39]
	s_waitcnt vmcnt(8)
	v_add_f64 v[48:49], v[190:191], v[54:55]
	s_waitcnt vmcnt(4)
	v_add_f64 v[184:185], v[146:147], v[197:198]
	v_mul_f64 v[146:147], v[60:61], s[40:41]
	v_add_f64 v[138:139], v[138:139], v[36:37]
	v_mul_f64 v[32:33], v[184:185], s[38:39]
	v_fma_f64 v[78:79], v[130:131], s[30:31], v[146:147]
	v_fma_f64 v[56:57], v[130:131], s[46:47], v[146:147]
	;; [unrolled: 1-line block ×4, first 2 shown]
	v_add_f64 v[138:139], v[138:139], v[190:191]
	v_add_f64 v[6:7], v[78:79], v[6:7]
	;; [unrolled: 1-line block ×3, first 2 shown]
	s_clause 0x1
	buffer_load_dword v40, off, s[60:63], 0 offset:376
	buffer_load_dword v41, off, s[60:63], 0 offset:380
	v_add_f64 v[2:3], v[146:147], v[2:3]
	v_add_f64 v[8:9], v[56:57], v[8:9]
	;; [unrolled: 1-line block ×3, first 2 shown]
	v_fma_f64 v[52:53], v[186:187], s[30:31], v[162:163]
	v_fma_f64 v[56:57], v[186:187], s[14:15], v[64:65]
	;; [unrolled: 1-line block ×3, first 2 shown]
	v_add_f64 v[138:139], v[138:139], v[140:141]
	v_add_f64 v[166:167], v[68:69], v[6:7]
	v_mul_f64 v[6:7], v[178:179], s[34:35]
	v_add_f64 v[178:179], v[66:67], v[22:23]
	v_add_f64 v[170:171], v[76:77], v[2:3]
	v_mul_f64 v[2:3], v[184:185], s[20:21]
	;; [unrolled: 3-line block ×4, first 2 shown]
	v_fma_f64 v[52:53], v[186:187], s[48:49], v[62:63]
	v_mul_f64 v[66:67], v[184:185], s[42:43]
	v_fma_f64 v[64:65], v[186:187], s[22:23], v[4:5]
	v_fma_f64 v[4:5], v[186:187], s[58:59], v[4:5]
	v_add_f64 v[138:139], v[138:139], v[164:165]
	v_fma_f64 v[56:57], v[186:187], s[44:45], v[6:7]
	v_fma_f64 v[6:7], v[186:187], s[24:25], v[6:7]
	v_add_f64 v[82:83], v[138:139], v[156:157]
	v_mul_f64 v[138:139], v[60:61], s[42:43]
	v_mul_f64 v[60:61], v[60:61], s[34:35]
	s_waitcnt vmcnt(4)
	v_add_f64 v[82:83], v[82:83], v[188:189]
	v_fma_f64 v[92:93], v[130:131], s[52:53], v[138:139]
	v_fma_f64 v[74:75], v[130:131], s[44:45], v[60:61]
	;; [unrolled: 1-line block ×4, first 2 shown]
	s_waitcnt vmcnt(2)
	v_add_f64 v[82:83], v[82:83], v[120:121]
	v_add_f64 v[20:21], v[92:93], v[20:21]
	v_mul_f64 v[92:93], v[184:185], s[8:9]
	v_add_f64 v[12:13], v[74:75], v[12:13]
	v_add_f64 v[10:11], v[60:61], v[10:11]
	v_fma_f64 v[60:61], v[186:187], s[16:17], v[62:63]
	v_mul_f64 v[74:75], v[184:185], s[18:19]
	v_add_f64 v[18:19], v[94:95], v[18:19]
	v_add_f64 v[82:83], v[82:83], v[0:1]
	;; [unrolled: 1-line block ×3, first 2 shown]
	v_mul_f64 v[60:61], v[184:185], s[40:41]
	v_add_f64 v[162:163], v[52:53], v[18:19]
	v_add_nc_u32_e32 v18, 0x400, v239
	v_add_f64 v[184:185], v[56:57], v[16:17]
	v_add_f64 v[82:83], v[82:83], v[54:55]
	;; [unrolled: 1-line block ×7, first 2 shown]
	v_mul_f64 v[70:71], v[24:25], s[18:19]
	v_mul_f64 v[88:89], v[24:25], s[38:39]
	;; [unrolled: 1-line block ×4, first 2 shown]
	v_add_f64 v[28:29], v[28:29], v[42:43]
	v_mul_f64 v[110:111], v[46:47], s[20:21]
	s_waitcnt vmcnt(0)
	v_add_f64 v[86:87], v[40:41], -v[58:59]
	s_clause 0x1
	buffer_load_dword v40, off, s[60:63], 0 offset:320
	buffer_load_dword v41, off, s[60:63], 0 offset:324
	v_add_f64 v[58:59], v[140:141], v[0:1]
	v_fma_f64 v[30:31], v[86:87], s[50:51], v[92:93]
	v_fma_f64 v[20:21], v[86:87], s[54:55], v[74:75]
	;; [unrolled: 1-line block ×5, first 2 shown]
	v_mul_f64 v[74:75], v[24:25], s[28:29]
	v_fma_f64 v[22:23], v[86:87], s[6:7], v[92:93]
	v_fma_f64 v[68:69], v[86:87], s[58:59], v[8:9]
	;; [unrolled: 1-line block ×9, first 2 shown]
	v_mul_f64 v[92:93], v[24:25], s[42:43]
	v_fma_f64 v[94:95], v[86:87], s[52:53], v[66:67]
	v_fma_f64 v[66:67], v[86:87], s[36:37], v[66:67]
	v_mul_f64 v[86:87], v[24:25], s[40:41]
	v_mul_f64 v[24:25], v[24:25], s[8:9]
	v_add_f64 v[30:31], v[194:195], v[30:31]
	v_add_f64 v[20:21], v[194:195], v[20:21]
	;; [unrolled: 1-line block ×16, first 2 shown]
	s_waitcnt vmcnt(0)
	v_add_f64 v[44:45], v[40:41], -v[168:169]
	s_clause 0x1
	buffer_load_dword v40, off, s[60:63], 0 offset:296
	buffer_load_dword v41, off, s[60:63], 0 offset:300
	v_add_f64 v[168:169], v[64:65], v[12:13]
	v_fma_f64 v[96:97], v[44:45], s[54:55], v[70:71]
	v_fma_f64 v[100:101], v[44:45], s[58:59], v[74:75]
	;; [unrolled: 1-line block ×10, first 2 shown]
	v_add_f64 v[30:31], v[96:97], v[30:31]
	v_fma_f64 v[96:97], v[44:45], s[24:25], v[98:99]
	v_fma_f64 v[98:99], v[44:45], s[44:45], v[98:99]
	v_add_f64 v[34:35], v[74:75], v[34:35]
	v_fma_f64 v[74:75], v[44:45], s[16:17], v[102:103]
	v_fma_f64 v[102:103], v[44:45], s[48:49], v[102:103]
	;; [unrolled: 3-line block ×3, first 2 shown]
	v_add_f64 v[44:45], v[36:37], v[50:51]
	s_clause 0x1
	buffer_load_dword v36, off, s[60:63], 0 offset:336
	buffer_load_dword v37, off, s[60:63], 0 offset:340
	v_add_f64 v[20:21], v[100:101], v[20:21]
	v_mul_f64 v[100:101], v[46:47], s[42:43]
	v_add_f64 v[22:23], v[70:71], v[22:23]
	v_mul_f64 v[70:71], v[46:47], s[38:39]
	;; [unrolled: 2-line block ×4, first 2 shown]
	v_mul_f64 v[106:107], v[46:47], s[8:9]
	v_add_f64 v[8:9], v[92:93], v[8:9]
	v_add_f64 v[42:43], v[108:109], v[42:43]
	;; [unrolled: 1-line block ×5, first 2 shown]
	v_mul_f64 v[96:97], v[46:47], s[28:29]
	v_mul_f64 v[46:47], v[46:47], s[40:41]
	v_add_f64 v[74:75], v[74:75], v[90:91]
	v_add_f64 v[60:61], v[102:103], v[60:61]
	;; [unrolled: 1-line block ×4, first 2 shown]
	v_add_f64 v[66:67], v[152:153], -v[132:133]
	v_mul_f64 v[94:95], v[44:45], s[28:29]
	v_fma_f64 v[54:55], v[66:67], s[58:59], v[94:95]
	s_waitcnt vmcnt(2)
	v_add_f64 v[40:41], v[40:41], -v[128:129]
	v_fma_f64 v[98:99], v[40:41], s[52:53], v[100:101]
	v_fma_f64 v[92:93], v[40:41], s[48:49], v[110:111]
	;; [unrolled: 1-line block ×10, first 2 shown]
	v_add_f64 v[2:3], v[98:99], v[2:3]
	v_fma_f64 v[98:99], v[40:41], s[46:47], v[46:47]
	v_add_f64 v[30:31], v[92:93], v[30:31]
	v_mul_f64 v[92:93], v[44:45], s[42:43]
	v_add_f64 v[22:23], v[86:87], v[22:23]
	v_fma_f64 v[86:87], v[40:41], s[50:51], v[106:107]
	v_add_f64 v[20:21], v[108:109], v[20:21]
	v_fma_f64 v[106:107], v[40:41], s[6:7], v[106:107]
	v_mul_f64 v[108:109], v[44:45], s[34:35]
	v_add_f64 v[34:35], v[70:71], v[34:35]
	v_fma_f64 v[70:71], v[40:41], s[58:59], v[96:97]
	v_fma_f64 v[96:97], v[40:41], s[22:23], v[96:97]
	v_add_f64 v[62:63], v[90:91], v[62:63]
	v_mul_f64 v[90:91], v[44:45], s[8:9]
	v_fma_f64 v[40:41], v[40:41], s[30:31], v[46:47]
	v_mul_f64 v[46:47], v[44:45], s[20:21]
	v_add_f64 v[68:69], v[100:101], v[68:69]
	v_add_f64 v[8:9], v[102:103], v[8:9]
	;; [unrolled: 1-line block ×4, first 2 shown]
	v_fma_f64 v[50:51], v[66:67], s[22:23], v[94:95]
	v_mul_f64 v[100:101], v[44:45], s[40:41]
	v_mul_f64 v[102:103], v[44:45], s[38:39]
	v_add_f64 v[88:89], v[98:99], v[88:89]
	s_waitcnt vmcnt(0)
	v_add_f64 v[98:99], v[36:37], -v[136:137]
	s_clause 0x3
	buffer_load_dword v36, off, s[60:63], 0 offset:304
	buffer_load_dword v37, off, s[60:63], 0 offset:308
	buffer_load_dword v38, off, s[60:63], 0 offset:384
	buffer_load_dword v39, off, s[60:63], 0 offset:388
	v_fma_f64 v[94:95], v[66:67], s[52:53], v[92:93]
	v_add_f64 v[72:73], v[86:87], v[72:73]
	v_fma_f64 v[86:87], v[66:67], s[36:37], v[92:93]
	v_fma_f64 v[92:93], v[66:67], s[24:25], v[108:109]
	v_mul_f64 v[44:45], v[44:45], s[18:19]
	v_add_f64 v[70:71], v[70:71], v[74:75]
	v_add_f64 v[60:61], v[96:97], v[60:61]
	v_fma_f64 v[74:75], v[66:67], s[44:45], v[108:109]
	v_fma_f64 v[96:97], v[66:67], s[6:7], v[90:91]
	;; [unrolled: 1-line block ×3, first 2 shown]
	v_mul_f64 v[104:105], v[48:49], s[34:35]
	v_add_f64 v[24:25], v[40:41], v[24:25]
	v_fma_f64 v[40:41], v[66:67], s[48:49], v[46:47]
	v_add_f64 v[30:31], v[54:55], v[30:31]
	v_fma_f64 v[46:47], v[66:67], s[16:17], v[46:47]
	v_mul_f64 v[54:55], v[48:49], s[40:41]
	v_add_f64 v[32:33], v[106:107], v[32:33]
	v_add_f64 v[22:23], v[50:51], v[22:23]
	v_fma_f64 v[50:51], v[66:67], s[46:47], v[100:101]
	s_waitcnt vmcnt(0) lgkmcnt(0)
	s_barrier
	buffer_gl0_inv
	v_add_f64 v[20:21], v[94:95], v[20:21]
	v_fma_f64 v[94:95], v[66:67], s[30:31], v[100:101]
	v_add_f64 v[34:35], v[86:87], v[34:35]
	v_mul_f64 v[86:87], v[48:49], s[18:19]
	v_add_f64 v[62:63], v[92:93], v[62:63]
	v_fma_f64 v[92:93], v[66:67], s[26:27], v[102:103]
	v_mul_f64 v[100:101], v[48:49], s[20:21]
	v_fma_f64 v[102:103], v[66:67], s[56:57], v[102:103]
	v_fma_f64 v[106:107], v[66:67], s[14:15], v[44:45]
	v_add_f64 v[2:3], v[74:75], v[2:3]
	v_add_f64 v[8:9], v[90:91], v[8:9]
	v_fma_f64 v[44:45], v[66:67], s[54:55], v[44:45]
	v_fma_f64 v[66:67], v[98:99], s[44:45], v[104:105]
	v_mul_f64 v[74:75], v[48:49], s[42:43]
	v_add_f64 v[40:41], v[40:41], v[42:43]
	v_fma_f64 v[42:43], v[98:99], s[24:25], v[104:105]
	v_add_f64 v[26:27], v[46:47], v[26:27]
	v_fma_f64 v[46:47], v[98:99], s[30:31], v[54:55]
	v_mul_f64 v[90:91], v[48:49], s[28:29]
	v_fma_f64 v[54:55], v[98:99], s[46:47], v[54:55]
	v_add_f64 v[68:69], v[96:97], v[68:69]
	v_add_f64 v[50:51], v[50:51], v[72:73]
	v_mul_f64 v[72:73], v[48:49], s[8:9]
	v_add_f64 v[32:33], v[94:95], v[32:33]
	v_mul_f64 v[48:49], v[48:49], s[38:39]
	v_fma_f64 v[94:95], v[98:99], s[14:15], v[86:87]
	v_fma_f64 v[86:87], v[98:99], s[54:55], v[86:87]
	v_add_f64 v[70:71], v[92:93], v[70:71]
	v_fma_f64 v[92:93], v[98:99], s[48:49], v[100:101]
	v_add_f64 v[60:61], v[102:103], v[60:61]
	v_fma_f64 v[96:97], v[98:99], s[16:17], v[100:101]
	v_mul_f64 v[102:103], v[58:59], s[38:39]
	v_add_f64 v[88:89], v[106:107], v[88:89]
	v_add_f64 v[24:25], v[44:45], v[24:25]
	;; [unrolled: 1-line block ×3, first 2 shown]
	v_fma_f64 v[44:45], v[98:99], s[52:53], v[74:75]
	v_mul_f64 v[66:67], v[58:59], s[34:35]
	v_add_f64 v[22:23], v[42:43], v[22:23]
	v_fma_f64 v[42:43], v[98:99], s[36:37], v[74:75]
	v_add_f64 v[20:21], v[46:47], v[20:21]
	v_fma_f64 v[46:47], v[98:99], s[22:23], v[90:91]
	v_add_f64 v[34:35], v[54:55], v[34:35]
	v_mul_f64 v[54:55], v[58:59], s[8:9]
	v_fma_f64 v[74:75], v[98:99], s[58:59], v[90:91]
	v_fma_f64 v[90:91], v[98:99], s[50:51], v[72:73]
	;; [unrolled: 1-line block ×3, first 2 shown]
	v_add_f64 v[62:63], v[94:95], v[62:63]
	v_add_f64 v[2:3], v[86:87], v[2:3]
	v_mul_f64 v[86:87], v[58:59], s[40:41]
	v_add_f64 v[68:69], v[92:93], v[68:69]
	v_fma_f64 v[92:93], v[98:99], s[56:57], v[48:49]
	v_fma_f64 v[48:49], v[98:99], s[26:27], v[48:49]
	v_add_f64 v[8:9], v[96:97], v[8:9]
	v_mul_f64 v[96:97], v[58:59], s[28:29]
	v_add_f64 v[40:41], v[44:45], v[40:41]
	v_add_f64 v[26:27], v[42:43], v[26:27]
	;; [unrolled: 1-line block ×3, first 2 shown]
	v_mul_f64 v[50:51], v[58:59], s[42:43]
	v_add_f64 v[32:33], v[74:75], v[32:33]
	v_add_f64 v[70:71], v[90:91], v[70:71]
	;; [unrolled: 1-line block ×5, first 2 shown]
	v_add_f64 v[100:101], v[36:37], -v[172:173]
	v_add_f64 v[36:37], v[164:165], v[120:121]
	v_add_f64 v[72:73], v[158:159], -v[38:39]
	v_add_f64 v[172:173], v[4:5], v[10:11]
	ds_read2_b64 v[10:13], v239 offset0:119 offset1:136
	v_add_f64 v[164:165], v[6:7], v[14:15]
	v_fma_f64 v[94:95], v[100:101], s[56:57], v[102:103]
	v_fma_f64 v[98:99], v[100:101], s[26:27], v[102:103]
	;; [unrolled: 1-line block ×3, first 2 shown]
	v_mul_f64 v[102:103], v[58:59], s[18:19]
	v_fma_f64 v[42:43], v[100:101], s[44:45], v[66:67]
	v_fma_f64 v[66:67], v[100:101], s[50:51], v[54:55]
	v_mul_f64 v[58:59], v[58:59], s[20:21]
	v_fma_f64 v[54:55], v[100:101], s[6:7], v[54:55]
	v_mul_f64 v[74:75], v[36:37], s[40:41]
	v_fma_f64 v[90:91], v[100:101], s[46:47], v[86:87]
	v_fma_f64 v[48:49], v[100:101], s[30:31], v[86:87]
	;; [unrolled: 1-line block ×6, first 2 shown]
	v_add_f64 v[30:31], v[94:95], v[30:31]
	v_add_f64 v[22:23], v[98:99], v[22:23]
	;; [unrolled: 1-line block ×3, first 2 shown]
	v_fma_f64 v[44:45], v[100:101], s[54:55], v[102:103]
	v_add_f64 v[34:35], v[42:43], v[34:35]
	v_mul_f64 v[42:43], v[36:37], s[20:21]
	v_add_f64 v[62:63], v[66:67], v[62:63]
	v_mul_f64 v[66:67], v[36:37], s[28:29]
	v_fma_f64 v[98:99], v[100:101], s[16:17], v[58:59]
	v_add_f64 v[2:3], v[54:55], v[2:3]
	v_fma_f64 v[54:55], v[100:101], s[48:49], v[58:59]
	v_mul_f64 v[58:59], v[36:37], s[38:39]
	v_fma_f64 v[94:95], v[100:101], s[14:15], v[102:103]
	v_fma_f64 v[100:101], v[72:73], s[46:47], v[74:75]
	v_add_f64 v[68:69], v[90:91], v[68:69]
	v_fma_f64 v[74:75], v[72:73], s[30:31], v[74:75]
	v_mul_f64 v[90:91], v[36:37], s[8:9]
	v_add_f64 v[8:9], v[48:49], v[8:9]
	v_mul_f64 v[48:49], v[36:37], s[42:43]
	v_add_f64 v[40:41], v[86:87], v[40:41]
	;; [unrolled: 2-line block ×4, first 2 shown]
	v_add_f64 v[70:71], v[96:97], v[70:71]
	v_add_f64 v[44:45], v[44:45], v[46:47]
	;; [unrolled: 1-line block ×3, first 2 shown]
	v_fma_f64 v[92:93], v[72:73], s[16:17], v[42:43]
	v_fma_f64 v[42:43], v[72:73], s[48:49], v[42:43]
	;; [unrolled: 1-line block ×4, first 2 shown]
	v_add_f64 v[88:89], v[98:99], v[88:89]
	v_add_f64 v[24:25], v[54:55], v[24:25]
	v_fma_f64 v[54:55], v[72:73], s[26:27], v[58:59]
	v_fma_f64 v[58:59], v[72:73], s[56:57], v[58:59]
	v_add_f64 v[32:33], v[94:95], v[32:33]
	v_add_f64 v[30:31], v[100:101], v[30:31]
	;; [unrolled: 1-line block ×3, first 2 shown]
	v_fma_f64 v[74:75], v[72:73], s[50:51], v[90:91]
	v_fma_f64 v[90:91], v[72:73], s[6:7], v[90:91]
	;; [unrolled: 1-line block ×8, first 2 shown]
	v_add_f64 v[72:73], v[148:149], -v[160:161]
	v_mul_f64 v[100:101], v[46:47], s[42:43]
	v_add_f64 v[20:21], v[92:93], v[20:21]
	v_mul_f64 v[92:93], v[46:47], s[8:9]
	v_add_f64 v[60:61], v[60:61], v[62:63]
	;; [unrolled: 2-line block ×6, first 2 shown]
	v_mul_f64 v[58:59], v[46:47], s[34:35]
	v_mul_f64 v[46:47], v[46:47], s[28:29]
	v_add_f64 v[26:27], v[90:91], v[26:27]
	v_add_f64 v[32:33], v[48:49], v[32:33]
	;; [unrolled: 1-line block ×8, first 2 shown]
	v_fma_f64 v[74:75], v[72:73], s[36:37], v[100:101]
	v_fma_f64 v[36:37], v[72:73], s[52:53], v[100:101]
	;; [unrolled: 1-line block ×16, first 2 shown]
	v_add_f64 v[66:67], v[28:29], v[197:198]
	v_add_f64 v[136:137], v[74:75], v[22:23]
	;; [unrolled: 1-line block ×6, first 2 shown]
	v_add_nc_u32_e32 v54, 0x800, v239
	v_add_f64 v[142:143], v[94:95], v[8:9]
	v_add_f64 v[140:141], v[42:43], v[2:3]
	ds_read2_b64 v[2:5], v239 offset0:221 offset1:238
	ds_read2_b64 v[188:191], v54 offset0:101 offset1:118
	buffer_load_dword v121, off, s[60:63], 0 offset:4 ; 4-byte Folded Reload
	v_add_f64 v[144:145], v[98:99], v[26:27]
	v_add_f64 v[154:155], v[100:101], v[44:45]
	;; [unrolled: 1-line block ×4, first 2 shown]
	ds_read2_b64 v[14:17], v54 offset0:203 offset1:220
	ds_read2_b64 v[22:25], v18 offset0:127 offset1:144
	;; [unrolled: 1-line block ×3, first 2 shown]
	s_clause 0x1
	buffer_load_dword v125, off, s[60:63], 0 offset:12
	buffer_load_dword v126, off, s[60:63], 0 offset:20
	ds_read2_b64 v[30:33], v239 offset0:153 offset1:170
	ds_read2_b64 v[34:37], v54 offset0:135 offset1:152
	buffer_load_dword v8, off, s[60:63], 0 offset:28 ; 4-byte Folded Reload
	v_add_nc_u32_e32 v55, 0x1000, v239
	v_add_f64 v[64:65], v[90:91], v[60:61]
	v_add_f64 v[160:161], v[96:97], v[40:41]
	;; [unrolled: 1-line block ×5, first 2 shown]
	s_waitcnt vmcnt(3)
	v_lshlrev_b32_e32 v26, 3, v121
	v_add3_u32 v100, 0, v26, v196
	s_waitcnt vmcnt(2)
	v_lshlrev_b32_e32 v27, 3, v125
	s_waitcnt vmcnt(1)
	v_lshlrev_b32_e32 v26, 3, v126
	v_add3_u32 v101, 0, v27, v196
	v_add3_u32 v102, 0, v26, v196
	buffer_load_dword v26, off, s[60:63], 0 ; 4-byte Folded Reload
	s_waitcnt vmcnt(1)
	ds_read_b64 v[186:187], v8
	s_waitcnt vmcnt(0)
	ds_read_b64 v[6:7], v26
	ds_read_b64 v[130:131], v100
	;; [unrolled: 1-line block ×3, first 2 shown]
	ds_read2_b64 v[42:45], v54 offset0:33 offset1:50
	ds_read2_b64 v[38:41], v55 offset0:15 offset1:32
	ds_read_b64 v[134:135], v102
	ds_read2_b64 v[46:49], v239 offset0:187 offset1:204
	ds_read2_b64 v[50:53], v54 offset0:169 offset1:186
	;; [unrolled: 1-line block ×5, first 2 shown]
	s_waitcnt lgkmcnt(0)
	s_barrier
	buffer_gl0_inv
	ds_write2_b64 v123, v[78:79], v[84:85] offset1:7
	ds_write2_b64 v123, v[180:181], v[182:183] offset0:14 offset1:21
	ds_write2_b64 v123, v[80:81], v[82:83] offset0:28 offset1:35
	ds_write2_b64 v123, v[76:77], v[184:185] offset0:42 offset1:49
	ds_write2_b64 v123, v[168:169], v[172:173] offset0:56 offset1:63
	ds_write2_b64 v123, v[164:165], v[162:163] offset0:70 offset1:77
	ds_write2_b64 v123, v[178:179], v[176:177] offset0:84 offset1:91
	ds_write2_b64 v123, v[174:175], v[170:171] offset0:98 offset1:105
	ds_write_b64 v123, v[166:167] offset:896
	ds_write2_b64 v124, v[66:67], v[68:69] offset1:7
	ds_write2_b64 v124, v[62:63], v[64:65] offset0:14 offset1:21
	ds_write2_b64 v124, v[158:159], v[160:161] offset0:28 offset1:35
	;; [unrolled: 1-line block ×7, first 2 shown]
	ds_write_b64 v124, v[136:137] offset:896
	s_and_saveexec_b32 s33, s0
	s_cbranch_execz .LBB0_20
; %bb.19:
	s_clause 0xb
	buffer_load_dword v62, off, s[60:63], 0 offset:272
	buffer_load_dword v63, off, s[60:63], 0 offset:276
	;; [unrolled: 1-line block ×12, first 2 shown]
	s_mov_b32 s20, 0x370991
	s_mov_b32 s22, 0x75d4884
	;; [unrolled: 1-line block ×48, first 2 shown]
	s_waitcnt vmcnt(8)
	v_add_f64 v[62:63], v[62:63], -v[64:65]
	s_waitcnt vmcnt(4)
	v_add_f64 v[64:65], v[96:97], v[174:175]
	s_waitcnt vmcnt(2)
	v_mov_b32_e32 v0, v103
	v_mov_b32_e32 v1, v104
	v_mul_f64 v[66:67], v[64:65], s[20:21]
	v_mul_f64 v[68:69], v[64:65], s[22:23]
	;; [unrolled: 1-line block ×8, first 2 shown]
	v_fma_f64 v[80:81], v[62:63], s[0:1], v[66:67]
	v_fma_f64 v[66:67], v[62:63], s[6:7], v[66:67]
	;; [unrolled: 1-line block ×16, first 2 shown]
	v_add_f64 v[64:65], v[0:1], v[96:97]
	v_add_f64 v[80:81], v[0:1], v[80:81]
	;; [unrolled: 1-line block ×17, first 2 shown]
	s_clause 0x3
	buffer_load_dword v62, off, s[60:63], 0 offset:104
	buffer_load_dword v63, off, s[60:63], 0 offset:108
	buffer_load_dword v96, off, s[60:63], 0 offset:264
	buffer_load_dword v97, off, s[60:63], 0 offset:268
	s_waitcnt vmcnt(0)
	v_add_f64 v[62:63], v[62:63], -v[96:97]
	s_clause 0x3
	buffer_load_dword v96, off, s[60:63], 0 offset:112
	buffer_load_dword v97, off, s[60:63], 0 offset:116
	buffer_load_dword v98, off, s[60:63], 0 offset:256
	buffer_load_dword v99, off, s[60:63], 0 offset:260
	s_waitcnt vmcnt(0)
	v_add_f64 v[96:97], v[96:97], -v[98:99]
	s_clause 0x3
	buffer_load_dword v98, off, s[60:63], 0 offset:120
	buffer_load_dword v99, off, s[60:63], 0 offset:124
	buffer_load_dword v103, off, s[60:63], 0 offset:248
	buffer_load_dword v104, off, s[60:63], 0 offset:252
	s_waitcnt vmcnt(0)
	v_add_f64 v[98:99], v[98:99], -v[103:104]
	s_clause 0x3
	buffer_load_dword v103, off, s[60:63], 0 offset:152
	buffer_load_dword v104, off, s[60:63], 0 offset:156
	buffer_load_dword v105, off, s[60:63], 0 offset:240
	buffer_load_dword v106, off, s[60:63], 0 offset:244
	s_waitcnt vmcnt(0)
	v_add_f64 v[103:104], v[103:104], -v[105:106]
	s_clause 0x3
	buffer_load_dword v105, off, s[60:63], 0 offset:168
	buffer_load_dword v106, off, s[60:63], 0 offset:172
	buffer_load_dword v107, off, s[60:63], 0 offset:232
	buffer_load_dword v108, off, s[60:63], 0 offset:236
	s_waitcnt vmcnt(0)
	v_add_f64 v[105:106], v[105:106], -v[107:108]
	s_clause 0xd
	buffer_load_dword v107, off, s[60:63], 0 offset:176
	buffer_load_dword v108, off, s[60:63], 0 offset:180
	;; [unrolled: 1-line block ×14, first 2 shown]
	s_waitcnt vmcnt(10)
	v_add_f64 v[107:108], v[107:108], -v[109:110]
	s_clause 0x9
	buffer_load_dword v109, off, s[60:63], 0 offset:160
	buffer_load_dword v110, off, s[60:63], 0 offset:164
	;; [unrolled: 1-line block ×10, first 2 shown]
	s_waitcnt vmcnt(18)
	v_add_f64 v[64:65], v[64:65], v[111:112]
	s_waitcnt vmcnt(16)
	v_add_f64 v[64:65], v[64:65], v[156:157]
	;; [unrolled: 2-line block ×8, first 2 shown]
	v_add_f64 v[64:65], v[64:65], v[172:173]
	v_mul_f64 v[115:116], v[111:112], s[48:49]
	v_mul_f64 v[117:118], v[111:112], s[52:53]
	;; [unrolled: 1-line block ×6, first 2 shown]
	v_add_f64 v[64:65], v[64:65], v[176:177]
	v_fma_f64 v[142:143], v[62:63], s[26:27], v[115:116]
	v_fma_f64 v[115:116], v[62:63], s[28:29], v[115:116]
	;; [unrolled: 1-line block ×12, first 2 shown]
	v_add_f64 v[64:65], v[64:65], v[113:114]
	v_mul_f64 v[113:114], v[111:112], s[22:23]
	v_mul_f64 v[111:112], v[111:112], s[20:21]
	v_add_f64 v[82:83], v[142:143], v[82:83]
	v_add_f64 v[68:69], v[115:116], v[68:69]
	;; [unrolled: 1-line block ×12, first 2 shown]
	v_fma_f64 v[140:141], v[62:63], s[8:9], v[113:114]
	v_fma_f64 v[113:114], v[62:63], s[14:15], v[113:114]
	;; [unrolled: 1-line block ×4, first 2 shown]
	v_add_f64 v[80:81], v[140:141], v[80:81]
	v_add_f64 v[66:67], v[113:114], v[66:67]
	s_clause 0x3
	buffer_load_dword v113, off, s[60:63], 0 offset:208
	buffer_load_dword v114, off, s[60:63], 0 offset:212
	;; [unrolled: 1-line block ×4, first 2 shown]
	v_add_f64 v[0:1], v[62:63], v[0:1]
	v_add_f64 v[94:95], v[154:155], v[94:95]
	s_waitcnt vmcnt(2)
	v_add_f64 v[111:112], v[158:159], v[113:114]
	v_add_f64 v[64:65], v[64:65], v[113:114]
	s_waitcnt vmcnt(0)
	v_add_f64 v[113:114], v[156:157], v[184:185]
	v_mul_f64 v[115:116], v[113:114], s[24:25]
	v_mul_f64 v[117:118], v[113:114], s[52:53]
	;; [unrolled: 1-line block ×8, first 2 shown]
	v_fma_f64 v[156:157], v[96:97], s[16:17], v[115:116]
	v_fma_f64 v[115:116], v[96:97], s[18:19], v[115:116]
	;; [unrolled: 1-line block ×16, first 2 shown]
	s_clause 0x1
	buffer_load_dword v113, off, s[60:63], 0 offset:192
	buffer_load_dword v114, off, s[60:63], 0 offset:196
	v_add_f64 v[62:63], v[156:157], v[80:81]
	v_add_f64 v[66:67], v[115:116], v[66:67]
	;; [unrolled: 1-line block ×16, first 2 shown]
	s_waitcnt vmcnt(0)
	v_add_f64 v[86:87], v[180:181], v[113:114]
	s_clause 0x1
	buffer_load_dword v180, off, s[60:63], 0 offset:200
	buffer_load_dword v181, off, s[60:63], 0 offset:204
	v_add_f64 v[64:65], v[64:65], v[113:114]
	v_mul_f64 v[96:97], v[86:87], s[50:51]
	v_mul_f64 v[142:143], v[86:87], s[20:21]
	v_fma_f64 v[144:145], v[103:104], s[36:37], v[96:97]
	v_fma_f64 v[96:97], v[103:104], s[30:31], v[96:97]
	;; [unrolled: 1-line block ×4, first 2 shown]
	s_waitcnt vmcnt(0)
	v_add_f64 v[113:114], v[178:179], v[180:181]
	v_add_f64 v[64:65], v[64:65], v[180:181]
	v_mul_f64 v[115:116], v[113:114], s[48:49]
	v_mul_f64 v[117:118], v[113:114], s[56:57]
	;; [unrolled: 1-line block ×8, first 2 shown]
	v_add_f64 v[64:65], v[64:65], v[184:185]
	v_fma_f64 v[148:149], v[98:99], s[26:27], v[115:116]
	v_fma_f64 v[115:116], v[98:99], s[28:29], v[115:116]
	;; [unrolled: 1-line block ×16, first 2 shown]
	v_mul_f64 v[113:114], v[86:87], s[54:55]
	v_add_f64 v[64:65], v[64:65], v[182:183]
	v_add_f64 v[62:63], v[148:149], v[62:63]
	v_add_f64 v[66:67], v[115:116], v[66:67]
	v_mul_f64 v[115:116], v[86:87], s[22:23]
	v_add_f64 v[68:69], v[117:118], v[68:69]
	v_mul_f64 v[117:118], v[86:87], s[24:25]
	v_add_f64 v[70:71], v[119:120], v[70:71]
	;; [unrolled: 2-line block ×3, first 2 shown]
	v_mul_f64 v[123:124], v[86:87], s[48:49]
	v_mul_f64 v[86:87], v[86:87], s[52:53]
	v_add_f64 v[80:81], v[150:151], v[80:81]
	v_add_f64 v[82:83], v[152:153], v[82:83]
	;; [unrolled: 1-line block ×6, first 2 shown]
	v_fma_f64 v[146:147], v[103:104], s[42:43], v[113:114]
	v_fma_f64 v[113:114], v[103:104], s[40:41], v[113:114]
	v_add_f64 v[78:79], v[140:141], v[78:79]
	v_mul_f64 v[98:99], v[111:112], s[50:51]
	v_mul_f64 v[136:137], v[111:112], s[56:57]
	v_add_f64 v[88:89], v[156:157], v[88:89]
	v_add_f64 v[62:63], v[144:145], v[62:63]
	;; [unrolled: 1-line block ×3, first 2 shown]
	v_fma_f64 v[148:149], v[103:104], s[14:15], v[115:116]
	v_fma_f64 v[115:116], v[103:104], s[8:9], v[115:116]
	;; [unrolled: 1-line block ×10, first 2 shown]
	v_mul_f64 v[96:97], v[111:112], s[52:53]
	v_mul_f64 v[103:104], v[111:112], s[20:21]
	v_add_f64 v[90:91], v[158:159], v[90:91]
	v_add_f64 v[92:93], v[160:161], v[92:93]
	;; [unrolled: 1-line block ×4, first 2 shown]
	v_mul_f64 v[113:114], v[111:112], s[54:55]
	v_fma_f64 v[140:141], v[105:106], s[30:31], v[98:99]
	v_fma_f64 v[98:99], v[105:106], s[36:37], v[98:99]
	;; [unrolled: 1-line block ×4, first 2 shown]
	v_add_f64 v[78:79], v[142:143], v[78:79]
	v_add_f64 v[82:83], v[148:149], v[82:83]
	v_add_f64 v[70:71], v[115:116], v[70:71]
	v_mul_f64 v[115:116], v[111:112], s[48:49]
	v_add_f64 v[72:73], v[117:118], v[72:73]
	v_mul_f64 v[117:118], v[111:112], s[22:23]
	v_mul_f64 v[111:112], v[111:112], s[24:25]
	v_add_f64 v[84:85], v[150:151], v[84:85]
	v_add_f64 v[74:75], v[119:120], v[74:75]
	;; [unrolled: 1-line block ×4, first 2 shown]
	v_fma_f64 v[138:139], v[105:106], s[38:39], v[96:97]
	v_fma_f64 v[144:145], v[105:106], s[0:1], v[103:104]
	v_fma_f64 v[103:104], v[105:106], s[6:7], v[103:104]
	v_mul_f64 v[86:87], v[109:110], s[54:55]
	v_fma_f64 v[96:97], v[105:106], s[34:35], v[96:97]
	v_add_f64 v[92:93], v[164:165], v[92:93]
	v_fma_f64 v[146:147], v[105:106], s[40:41], v[113:114]
	v_fma_f64 v[113:114], v[105:106], s[42:43], v[113:114]
	v_add_f64 v[68:69], v[98:99], v[68:69]
	v_add_f64 v[123:124], v[172:173], v[176:177]
	v_mul_f64 v[98:99], v[109:110], s[48:49]
	v_add_f64 v[78:79], v[136:137], v[78:79]
	v_add_f64 v[94:95], v[162:163], v[94:95]
	v_add_f64 v[90:91], v[154:155], v[90:91]
	v_fma_f64 v[148:149], v[105:106], s[28:29], v[115:116]
	v_fma_f64 v[115:116], v[105:106], s[26:27], v[115:116]
	;; [unrolled: 1-line block ×6, first 2 shown]
	v_mul_f64 v[111:112], v[109:110], s[52:53]
	v_add_f64 v[80:81], v[140:141], v[80:81]
	v_add_f64 v[62:63], v[138:139], v[62:63]
	v_mul_f64 v[138:139], v[109:110], s[22:23]
	v_add_f64 v[70:71], v[103:104], v[70:71]
	v_fma_f64 v[103:104], v[107:108], s[40:41], v[86:87]
	v_add_f64 v[66:67], v[96:97], v[66:67]
	v_mul_f64 v[96:97], v[109:110], s[24:25]
	v_add_f64 v[92:93], v[156:157], v[92:93]
	v_add_f64 v[82:83], v[144:145], v[82:83]
	v_mul_f64 v[119:120], v[109:110], s[56:57]
	v_mul_f64 v[142:143], v[123:124], s[56:57]
	v_add_f64 v[88:89], v[152:153], v[88:89]
	v_add_f64 v[72:73], v[113:114], v[72:73]
	v_mul_f64 v[113:114], v[109:110], s[20:21]
	v_mul_f64 v[109:110], v[109:110], s[50:51]
	v_add_f64 v[84:85], v[146:147], v[84:85]
	v_add_f64 v[74:75], v[115:116], v[74:75]
	;; [unrolled: 1-line block ×4, first 2 shown]
	v_fma_f64 v[117:118], v[107:108], s[26:27], v[98:99]
	v_add_f64 v[0:1], v[105:106], v[0:1]
	v_fma_f64 v[105:106], v[107:108], s[38:39], v[111:112]
	v_fma_f64 v[98:99], v[107:108], s[28:29], v[98:99]
	v_add_f64 v[90:91], v[150:151], v[90:91]
	v_mul_f64 v[144:145], v[123:124], s[20:21]
	v_fma_f64 v[86:87], v[107:108], s[42:43], v[86:87]
	v_add_f64 v[62:63], v[103:104], v[62:63]
	v_fma_f64 v[103:104], v[107:108], s[34:35], v[111:112]
	s_clause 0x3
	buffer_load_dword v111, off, s[60:63], 0 offset:32
	buffer_load_dword v112, off, s[60:63], 0 offset:36
	;; [unrolled: 1-line block ×4, first 2 shown]
	v_fma_f64 v[115:116], v[107:108], s[18:19], v[96:97]
	v_fma_f64 v[96:97], v[107:108], s[16:17], v[96:97]
	v_mul_f64 v[146:147], v[123:124], s[24:25]
	v_add_f64 v[64:65], v[64:65], v[174:175]
	v_add_f64 v[88:89], v[148:149], v[88:89]
	v_fma_f64 v[140:141], v[107:108], s[36:37], v[109:110]
	v_add_f64 v[94:95], v[158:159], v[94:95]
	v_add_f64 v[82:83], v[117:118], v[82:83]
	v_mul_f64 v[117:118], v[123:124], s[54:55]
	v_add_f64 v[72:73], v[105:106], v[72:73]
	v_add_f64 v[70:71], v[98:99], v[70:71]
	v_mul_f64 v[98:99], v[123:124], s[22:23]
	;; [unrolled: 3-line block ×3, first 2 shown]
	v_add_f64 v[80:81], v[115:116], v[80:81]
	v_add_f64 v[68:69], v[96:97], v[68:69]
	v_fma_f64 v[96:97], v[107:108], s[14:15], v[138:139]
	v_fma_f64 v[115:116], v[107:108], s[46:47], v[119:120]
	;; [unrolled: 1-line block ×4, first 2 shown]
	v_add_f64 v[94:95], v[140:141], v[94:95]
	v_add_f64 v[92:93], v[96:97], v[92:93]
	v_add_f64 v[90:91], v[115:116], v[90:91]
	v_add_f64 v[76:77], v[119:120], v[76:77]
	v_add_f64 v[78:79], v[138:139], v[78:79]
	s_waitcnt vmcnt(0)
	v_add_f64 v[111:112], v[111:112], -v[136:137]
	v_fma_f64 v[136:137], v[107:108], s[0:1], v[113:114]
	v_fma_f64 v[113:114], v[107:108], s[6:7], v[113:114]
	v_fma_f64 v[107:108], v[107:108], s[30:31], v[109:110]
	v_mul_f64 v[109:110], v[123:124], s[52:53]
	v_mul_f64 v[123:124], v[123:124], s[48:49]
	v_fma_f64 v[96:97], v[111:112], s[46:47], v[142:143]
	v_fma_f64 v[105:106], v[111:112], s[6:7], v[144:145]
	v_fma_f64 v[115:116], v[111:112], s[40:41], v[117:118]
	v_add_f64 v[88:89], v[136:137], v[88:89]
	v_fma_f64 v[119:120], v[111:112], s[14:15], v[98:99]
	v_fma_f64 v[136:137], v[111:112], s[38:39], v[109:110]
	v_add_f64 v[74:75], v[113:114], v[74:75]
	v_fma_f64 v[113:114], v[111:112], s[0:1], v[144:145]
	v_fma_f64 v[138:139], v[111:112], s[18:19], v[146:147]
	;; [unrolled: 1-line block ×3, first 2 shown]
	v_add_f64 v[0:1], v[107:108], v[0:1]
	v_fma_f64 v[107:108], v[111:112], s[28:29], v[123:124]
	v_fma_f64 v[123:124], v[111:112], s[26:27], v[123:124]
	;; [unrolled: 1-line block ×8, first 2 shown]
	v_add_f64 v[62:63], v[96:97], v[62:63]
	buffer_load_dword v97, off, s[60:63], 0 offset:512 ; 4-byte Folded Reload
	v_add_f64 v[80:81], v[105:106], v[80:81]
	v_add_f64 v[82:83], v[115:116], v[82:83]
	v_add_f64 v[84:85], v[119:120], v[84:85]
	v_add_f64 v[88:89], v[136:137], v[88:89]
	v_mov_b32_e32 v96, 3
	v_add_f64 v[68:69], v[113:114], v[68:69]
	v_add_f64 v[90:91], v[138:139], v[90:91]
	;; [unrolled: 1-line block ×11, first 2 shown]
	s_waitcnt vmcnt(0)
	v_lshlrev_b32_sdwa v96, v96, v97 dst_sel:DWORD dst_unused:UNUSED_PAD src0_sel:DWORD src1_sel:BYTE_0
	v_add3_u32 v86, 0, v96, v196
	v_add_nc_u32_e32 v87, 0x800, v86
	v_add_nc_u32_e32 v96, 0x1000, v86
	ds_write2_b64 v87, v[64:65], v[62:63] offset0:220 offset1:227
	ds_write2_b64 v87, v[80:81], v[82:83] offset0:234 offset1:241
	;; [unrolled: 1-line block ×8, first 2 shown]
	ds_write_b64 v86, v[66:67] offset:4704
.LBB0_20:
	s_or_b32 exec_lo, exec_lo, s33
	s_waitcnt lgkmcnt(0)
	s_barrier
	buffer_gl0_inv
	s_and_saveexec_b32 s0, vcc_lo
	s_cbranch_execz .LBB0_22
; %bb.21:
	v_lshlrev_b32_e32 v94, 2, v238
	v_mov_b32_e32 v1, 0
	v_add_nc_u32_e32 v253, 0x800, v239
	v_add_nc_u32_e32 v255, 0x1000, v239
	v_mul_lo_u32 v254, s5, v236
	v_add_nc_u32_e32 v0, 0x198, v94
	v_mov_b32_e32 v95, v1
	s_mov_b32 s8, 0x134454ff
	s_mov_b32 s9, 0x3fee6f0e
	;; [unrolled: 1-line block ×3, first 2 shown]
	v_lshlrev_b64 v[62:63], 4, v[0:1]
	v_add_nc_u32_e32 v0, 0x154, v94
	v_lshlrev_b64 v[94:95], 4, v[94:95]
	s_mov_b32 s0, 0x372fe950
	s_mov_b32 s1, 0x3fd3c6ef
	v_lshlrev_b64 v[64:65], 4, v[0:1]
	v_add_co_u32 v96, vcc_lo, s12, v62
	v_add_co_ci_u32_e32 v97, vcc_lo, s13, v63, vcc_lo
	v_lshlrev_b32_e32 v0, 2, v126
	v_add_co_u32 v86, vcc_lo, s12, v64
	v_add_co_ci_u32_e32 v87, vcc_lo, s13, v65, vcc_lo
	v_lshlrev_b64 v[78:79], 4, v[0:1]
	s_clause 0x1
	global_load_dwordx4 v[62:65], v[96:97], off offset:1808
	global_load_dwordx4 v[66:69], v[86:87], off offset:1808
	v_lshlrev_b32_e32 v0, 2, v125
	s_clause 0x3
	global_load_dwordx4 v[82:85], v[96:97], off offset:1840
	global_load_dwordx4 v[74:77], v[86:87], off offset:1840
	;; [unrolled: 1-line block ×4, first 2 shown]
	v_add_co_u32 v98, vcc_lo, s12, v78
	v_lshlrev_b64 v[103:104], 4, v[0:1]
	v_lshlrev_b32_e32 v0, 2, v121
	v_add_co_ci_u32_e32 v99, vcc_lo, s13, v79, vcc_lo
	v_mov_b32_e32 v120, v188
	v_mov_b32_e32 v121, v189
	v_add_co_u32 v103, vcc_lo, s12, v103
	global_load_dwordx4 v[108:111], v[98:99], off offset:1808
	v_add_co_ci_u32_e32 v104, vcc_lo, s13, v104, vcc_lo
	v_lshlrev_b64 v[124:125], 4, v[0:1]
	v_lshlrev_b32_e32 v0, 2, v127
	v_add_co_u32 v105, vcc_lo, s12, v94
	v_add_co_ci_u32_e32 v106, vcc_lo, s13, v95, vcc_lo
	v_lshlrev_b64 v[0:1], 4, v[0:1]
	s_clause 0x4
	global_load_dwordx4 v[78:81], v[98:99], off offset:1824
	global_load_dwordx4 v[86:89], v[98:99], off offset:1792
	;; [unrolled: 1-line block ×5, first 2 shown]
	buffer_store_dword v6, off, s[60:63], 0 offset:12 ; 4-byte Folded Spill
	buffer_store_dword v7, off, s[60:63], 0 offset:16 ; 4-byte Folded Spill
	s_clause 0x5
	global_load_dwordx4 v[247:250], v[105:106], off offset:1808
	global_load_dwordx4 v[136:139], v[105:106], off offset:1824
	;; [unrolled: 1-line block ×6, first 2 shown]
	v_add_co_u32 v98, vcc_lo, s12, v124
	v_add_co_ci_u32_e32 v99, vcc_lo, s13, v125, vcc_lo
	v_add_co_u32 v0, vcc_lo, s12, v0
	v_add_co_ci_u32_e32 v1, vcc_lo, s13, v1, vcc_lo
	s_clause 0x6
	global_load_dwordx4 v[156:159], v[103:104], off offset:1824
	global_load_dwordx4 v[160:163], v[98:99], off offset:1808
	;; [unrolled: 1-line block ×7, first 2 shown]
	buffer_store_dword v186, off, s[60:63], 0 offset:4 ; 4-byte Folded Spill
	buffer_store_dword v187, off, s[60:63], 0 offset:8 ; 4-byte Folded Spill
	v_mov_b32_e32 v122, v190
	v_mov_b32_e32 v123, v191
	s_clause 0x2
	global_load_dwordx4 v[184:187], v[0:1], off offset:1824
	global_load_dwordx4 v[188:191], v[0:1], off offset:1840
	;; [unrolled: 1-line block ×3, first 2 shown]
	ds_read2_b64 v[196:199], v253 offset0:67 offset1:84
	ds_read2_b64 v[200:203], v239 offset0:221 offset1:238
	ds_read2_b64 v[204:207], v255 offset0:49 offset1:66
	ds_read2_b64 v[208:211], v239 offset0:85 offset1:102
	ds_read2_b64 v[212:215], v253 offset0:169 offset1:186
	ds_read2_b64 v[216:219], v239 offset0:187 offset1:204
	ds_read_b64 v[124:125], v102
	ds_read2_b64 v[102:105], v239 offset0:153 offset1:170
	ds_read2_b64 v[220:223], v239 offset0:119 offset1:136
	;; [unrolled: 1-line block ×3, first 2 shown]
	ds_read_b64 v[243:244], v101
	ds_read_b64 v[245:246], v100
	v_add_nc_u32_e32 v127, 0x400, v239
	v_mov_b32_e32 v7, v5
	v_mov_b32_e32 v6, v4
	;; [unrolled: 1-line block ×4, first 2 shown]
	v_mul_lo_u32 v126, s4, v237
	v_mad_u64_u32 v[2:3], null, s4, v236, 0
	s_mov_b32 s13, 0xbfee6f0e
	s_mov_b32 s12, s8
	;; [unrolled: 1-line block ×5, first 2 shown]
	v_add3_u32 v3, v3, v126, v254
	s_waitcnt vmcnt(27)
	v_mul_f64 v[0:1], v[60:61], v[64:65]
	s_waitcnt vmcnt(26)
	v_mul_f64 v[98:99], v[58:59], v[68:69]
	s_waitcnt lgkmcnt(11)
	v_mul_f64 v[68:69], v[196:197], v[68:69]
	s_waitcnt vmcnt(25)
	v_mul_f64 v[228:229], v[56:57], v[84:85]
	s_waitcnt lgkmcnt(9)
	v_mul_f64 v[84:85], v[206:207], v[84:85]
	s_waitcnt vmcnt(24)
	v_mul_f64 v[230:231], v[54:55], v[76:77]
	v_mul_f64 v[76:77], v[204:205], v[76:77]
	s_waitcnt vmcnt(23)
	v_mul_f64 v[232:233], v[52:53], v[72:73]
	s_waitcnt lgkmcnt(7)
	v_mul_f64 v[72:73], v[214:215], v[72:73]
	v_mul_f64 v[64:65], v[198:199], v[64:65]
	s_waitcnt vmcnt(22)
	v_mul_f64 v[251:252], v[48:49], v[92:93]
	s_waitcnt lgkmcnt(6)
	v_mul_f64 v[92:93], v[218:219], v[92:93]
	v_fma_f64 v[0:1], v[198:199], v[62:63], -v[0:1]
	v_fma_f64 v[241:242], v[196:197], v[66:67], -v[98:99]
	v_fma_f64 v[68:69], v[58:59], v[66:67], v[68:69]
	buffer_load_dword v58, off, s[60:63], 0 ; 4-byte Folded Reload
	s_waitcnt vmcnt(21)
	v_mul_f64 v[239:240], v[50:51], v[80:81]
	v_mul_f64 v[80:81], v[212:213], v[80:81]
	v_fma_f64 v[206:207], v[206:207], v[82:83], -v[228:229]
	v_fma_f64 v[82:83], v[56:57], v[82:83], v[84:85]
	s_waitcnt vmcnt(20)
	v_mul_f64 v[84:85], v[46:47], v[88:89]
	v_fma_f64 v[204:205], v[204:205], v[74:75], -v[230:231]
	v_fma_f64 v[54:55], v[54:55], v[74:75], v[76:77]
	v_mul_f64 v[74:75], v[216:217], v[88:89]
	s_waitcnt lgkmcnt(2)
	v_mul_f64 v[88:89], v[226:227], v[110:111]
	v_fma_f64 v[76:77], v[214:215], v[70:71], -v[232:233]
	v_fma_f64 v[70:71], v[52:53], v[70:71], v[72:73]
	v_mul_f64 v[72:73], v[44:45], v[110:111]
	v_fma_f64 v[236:237], v[60:61], v[62:63], v[64:65]
	v_fma_f64 v[214:215], v[218:219], v[90:91], -v[251:252]
	v_fma_f64 v[48:49], v[48:49], v[90:91], v[92:93]
	s_waitcnt vmcnt(17)
	v_mul_f64 v[90:91], v[14:15], v[96:97]
	s_waitcnt vmcnt(15)
	v_mul_f64 v[218:219], v[120:121], v[138:139]
	s_waitcnt vmcnt(0)
	ds_read_b64 v[128:129], v58
	ds_read_b64 v[106:107], v8
	ds_read2_b64 v[56:59], v255 offset0:15 offset1:32
	v_fma_f64 v[110:111], v[212:213], v[78:79], -v[239:240]
	v_mul_f64 v[212:213], v[42:43], v[114:115]
	v_fma_f64 v[78:79], v[50:51], v[78:79], v[80:81]
	v_mul_f64 v[80:81], v[224:225], v[114:115]
	v_mul_f64 v[114:115], v[4:5], v[118:119]
	v_fma_f64 v[44:45], v[44:45], v[108:109], v[88:89]
	v_mul_f64 v[88:89], v[38:39], v[150:151]
	ds_read2_b64 v[196:199], v253 offset0:203 offset1:220
	ds_read2_b64 v[60:63], v253 offset0:135 offset1:152
	;; [unrolled: 1-line block ×3, first 2 shown]
	v_fma_f64 v[84:85], v[216:217], v[86:87], -v[84:85]
	v_fma_f64 v[46:47], v[46:47], v[86:87], v[74:75]
	v_mul_f64 v[74:75], v[40:41], v[146:147]
	v_fma_f64 v[72:73], v[226:227], v[108:109], -v[72:73]
	v_mul_f64 v[108:109], v[32:33], v[154:155]
	ds_read2_b64 v[50:53], v253 offset0:237 offset1:254
	ds_read2_b64 v[98:101], v253 offset0:101 offset1:118
	v_mov_b32_e32 v254, v3
	v_mov_b32_e32 v253, v2
	v_add_f64 v[8:9], v[26:27], v[48:49]
	v_mul_f64 v[216:217], v[10:11], v[142:143]
	s_waitcnt lgkmcnt(5)
	v_mul_f64 v[150:151], v[56:57], v[150:151]
	v_mul_f64 v[86:87], v[58:59], v[146:147]
	;; [unrolled: 1-line block ×3, first 2 shown]
	v_fma_f64 v[146:147], v[224:225], v[112:113], -v[212:213]
	v_mul_f64 v[212:213], v[36:37], v[158:159]
	v_fma_f64 v[42:43], v[42:43], v[112:113], v[80:81]
	v_mul_f64 v[112:113], v[104:105], v[154:155]
	s_waitcnt lgkmcnt(4)
	v_mul_f64 v[92:93], v[196:197], v[96:97]
	v_mul_f64 v[96:97], v[200:201], v[118:119]
	s_waitcnt lgkmcnt(3)
	v_mul_f64 v[80:81], v[62:63], v[158:159]
	v_fma_f64 v[114:115], v[200:201], v[116:117], -v[114:115]
	v_mul_f64 v[154:155], v[24:25], v[162:163]
	v_mul_f64 v[158:159], v[30:31], v[166:167]
	v_fma_f64 v[90:91], v[196:197], v[94:95], -v[90:91]
	v_fma_f64 v[58:59], v[58:59], v[144:145], -v[74:75]
	v_mul_f64 v[74:75], v[102:103], v[166:167]
	v_fma_f64 v[56:57], v[56:57], v[148:149], -v[88:89]
	v_mul_f64 v[88:89], v[22:23], v[178:179]
	v_fma_f64 v[104:105], v[104:105], v[152:153], -v[108:109]
	s_waitcnt lgkmcnt(0)
	v_mul_f64 v[166:167], v[100:101], v[186:187]
	v_add_f64 v[8:9], v[68:69], v[8:9]
	v_fma_f64 v[38:39], v[38:39], v[148:149], v[150:151]
	v_mul_f64 v[150:151], v[18:19], v[190:191]
	v_fma_f64 v[40:41], v[40:41], v[144:145], v[86:87]
	v_mul_f64 v[86:87], v[52:53], v[174:175]
	v_mul_f64 v[144:145], v[12:13], v[182:183]
	v_fma_f64 v[62:63], v[62:63], v[156:157], -v[212:213]
	v_mul_f64 v[148:149], v[122:123], v[186:187]
	v_fma_f64 v[108:109], v[32:33], v[152:153], v[112:113]
	v_fma_f64 v[14:15], v[14:15], v[94:95], v[92:93]
	v_mul_f64 v[92:93], v[34:35], v[170:171]
	v_fma_f64 v[2:3], v[4:5], v[116:117], v[96:97]
	v_mul_f64 v[96:97], v[66:67], v[162:163]
	v_mul_f64 v[116:117], v[60:61], v[170:171]
	;; [unrolled: 1-line block ×3, first 2 shown]
	v_fma_f64 v[36:37], v[36:37], v[156:157], v[80:81]
	v_mul_f64 v[156:157], v[50:51], v[190:191]
	v_add_f64 v[152:153], v[114:115], v[210:211]
	v_mul_f64 v[94:95], v[20:21], v[174:175]
	v_mul_f64 v[80:81], v[222:223], v[182:183]
	v_fma_f64 v[66:67], v[66:67], v[160:161], -v[154:155]
	v_fma_f64 v[102:103], v[102:103], v[164:165], -v[158:159]
	v_add_f64 v[32:33], v[0:1], v[90:91]
	v_fma_f64 v[174:175], v[64:65], v[176:177], -v[88:89]
	v_fma_f64 v[150:151], v[50:51], v[188:189], -v[150:151]
	v_add_f64 v[50:51], v[214:215], v[208:209]
	v_add_f64 v[64:65], v[134:135], v[46:47]
	;; [unrolled: 1-line block ×3, first 2 shown]
	v_fma_f64 v[144:145], v[222:223], v[180:181], -v[144:145]
	v_add_f64 v[182:183], v[241:242], v[76:77]
	v_add_f64 v[200:201], v[132:133], v[108:109]
	v_add_f64 v[190:191], v[241:242], -v[76:77]
	v_fma_f64 v[92:93], v[60:61], v[168:169], -v[92:93]
	v_add_f64 v[60:61], v[114:115], -v[0:1]
	v_fma_f64 v[24:25], v[24:25], v[160:161], v[96:97]
	v_fma_f64 v[112:113], v[34:35], v[168:169], v[116:117]
	;; [unrolled: 1-line block ×4, first 2 shown]
	v_add_f64 v[20:21], v[0:1], -v[114:115]
	v_add_f64 v[30:31], v[114:115], v[206:207]
	v_add_f64 v[86:87], v[2:3], -v[82:83]
	v_add_f64 v[154:155], v[236:237], -v[2:3]
	v_add_f64 v[160:161], v[2:3], v[82:83]
	v_add_f64 v[164:165], v[0:1], -v[90:91]
	v_add_f64 v[168:169], v[2:3], -v[236:237]
	v_add_f64 v[2:3], v[28:29], v[2:3]
	v_fma_f64 v[162:163], v[22:23], v[176:177], v[162:163]
	v_add_f64 v[22:23], v[84:85], v[124:125]
	v_add_f64 v[0:1], v[0:1], v[152:153]
	;; [unrolled: 1-line block ×3, first 2 shown]
	v_fma_f64 v[176:177], v[12:13], v[180:181], v[80:81]
	v_fma_f64 v[156:157], v[18:19], v[188:189], v[156:157]
	v_add_f64 v[18:19], v[76:77], -v[204:205]
	v_add_f64 v[180:181], v[204:205], -v[76:77]
	v_add_f64 v[64:65], v[44:45], v[64:65]
	v_fma_f64 v[94:95], v[52:53], v[172:173], -v[94:95]
	v_add_f64 v[52:53], v[90:91], -v[206:207]
	v_add_f64 v[74:75], v[236:237], -v[14:15]
	;; [unrolled: 1-line block ×5, first 2 shown]
	v_fma_f64 v[224:225], v[30:31], -0.5, v[210:211]
	v_fma_f64 v[210:211], v[32:33], -0.5, v[210:211]
	v_add_f64 v[32:33], v[146:147], v[196:197]
	v_add_f64 v[170:171], v[82:83], -v[14:15]
	v_add_f64 v[172:173], v[236:237], v[14:15]
	v_fma_f64 v[148:149], v[100:101], v[184:185], -v[148:149]
	v_add_f64 v[2:3], v[236:237], v[2:3]
	v_fma_f64 v[166:167], v[122:123], v[184:185], v[166:167]
	v_add_f64 v[22:23], v[72:73], v[22:23]
	v_add_f64 v[0:1], v[90:91], v[0:1]
	v_add_f64 v[30:31], v[76:77], v[50:51]
	v_add_f64 v[76:77], v[42:43], v[200:201]
	v_add_f64 v[12:13], v[241:242], -v[214:215]
	v_add_f64 v[88:89], v[214:215], v[204:205]
	v_add_f64 v[100:101], v[48:49], -v[54:55]
	v_add_f64 v[184:185], v[68:69], -v[48:49]
	v_add_f64 v[188:189], v[48:49], v[54:55]
	v_add_f64 v[212:213], v[48:49], -v[68:69]
	v_add_f64 v[48:49], v[68:69], v[70:71]
	v_add_f64 v[8:9], v[8:9], v[70:71]
	v_fma_f64 v[160:161], v[160:161], -0.5, v[28:29]
	v_add_f64 v[64:65], v[64:65], v[78:79]
	v_add_f64 v[80:81], v[68:69], -v[70:71]
	v_add_f64 v[178:179], v[214:215], -v[241:242]
	;; [unrolled: 1-line block ×6, first 2 shown]
	v_add_f64 v[14:15], v[2:3], v[14:15]
	v_add_f64 v[222:223], v[110:111], -v[58:59]
	v_add_f64 v[22:23], v[110:111], v[22:23]
	v_add_f64 v[2:3], v[206:207], v[0:1]
	;; [unrolled: 1-line block ×4, first 2 shown]
	v_fma_f64 v[182:183], v[182:183], -0.5, v[208:209]
	v_fma_f64 v[88:89], v[88:89], -0.5, v[208:209]
	v_add_f64 v[208:209], v[44:45], -v[78:79]
	v_add_f64 v[226:227], v[84:85], v[58:59]
	v_add_f64 v[90:91], v[46:47], -v[40:41]
	v_add_f64 v[228:229], v[84:85], -v[72:73]
	;; [unrolled: 1-line block ×3, first 2 shown]
	v_add_f64 v[70:71], v[72:73], v[110:111]
	v_fma_f64 v[28:29], v[172:173], -0.5, v[28:29]
	v_fma_f64 v[172:173], v[188:189], -0.5, v[26:27]
	;; [unrolled: 1-line block ×3, first 2 shown]
	v_add_f64 v[188:189], v[44:45], -v[46:47]
	v_add_f64 v[196:197], v[78:79], -v[40:41]
	;; [unrolled: 1-line block ×4, first 2 shown]
	v_add_f64 v[110:111], v[46:47], v[40:41]
	v_add_f64 v[200:201], v[46:47], -v[44:45]
	v_add_f64 v[44:45], v[44:45], v[78:79]
	v_add_f64 v[78:79], v[40:41], -v[78:79]
	;; [unrolled: 2-line block ×3, first 2 shown]
	v_add_f64 v[82:83], v[62:63], -v[56:57]
	v_add_f64 v[32:33], v[204:205], v[30:31]
	v_add_f64 v[30:31], v[8:9], v[54:55]
	v_add_f64 v[8:9], v[42:43], -v[36:37]
	v_add_f64 v[54:55], v[104:105], v[56:57]
	v_add_f64 v[48:49], v[58:59], v[22:23]
	;; [unrolled: 1-line block ×3, first 2 shown]
	v_add_f64 v[64:65], v[108:109], -v[38:39]
	v_add_f64 v[22:23], v[104:105], -v[146:147]
	v_add_f64 v[20:21], v[20:21], v[52:53]
	v_add_f64 v[40:41], v[146:147], v[62:63]
	v_add_f64 v[52:53], v[146:147], -v[62:63]
	v_add_f64 v[62:63], v[56:57], -v[62:63]
	v_add_f64 v[96:97], v[60:61], v[96:97]
	v_add_f64 v[146:147], v[42:43], -v[108:109]
	v_add_f64 v[154:155], v[154:155], v[158:159]
	v_add_f64 v[158:159], v[36:37], -v[38:39]
	v_add_f64 v[104:105], v[104:105], -v[56:57]
	v_add_f64 v[168:169], v[168:169], v[170:171]
	v_add_f64 v[170:171], v[108:109], v[38:39]
	v_add_f64 v[108:109], v[108:109], -v[42:43]
	v_add_f64 v[42:43], v[42:43], v[36:37]
	v_add_f64 v[36:37], v[38:39], -v[36:37]
	v_add_f64 v[60:61], v[56:57], v[206:207]
	v_add_f64 v[58:59], v[76:77], v[38:39]
	v_fma_f64 v[38:39], v[74:75], s[8:9], v[224:225]
	v_fma_f64 v[56:57], v[164:165], s[12:13], v[160:161]
	v_add_f64 v[76:77], v[12:13], v[18:19]
	v_fma_f64 v[12:13], v[74:75], s[12:13], v[224:225]
	v_fma_f64 v[18:19], v[164:165], s[8:9], v[160:161]
	v_add_f64 v[160:161], v[178:179], v[180:181]
	v_add_f64 v[180:181], v[212:213], v[214:215]
	v_fma_f64 v[110:111], v[110:111], -0.5, v[134:135]
	v_fma_f64 v[134:135], v[44:45], -0.5, v[134:135]
	v_add_f64 v[44:45], v[102:103], -v[66:67]
	v_add_f64 v[212:213], v[94:95], -v[92:93]
	v_add_f64 v[214:215], v[22:23], v[62:63]
	v_add_f64 v[22:23], v[66:67], v[92:93]
	v_fma_f64 v[62:63], v[40:41], -0.5, v[243:244]
	v_add_f64 v[40:41], v[102:103], v[245:246]
	v_mul_f64 v[204:205], v[16:17], v[194:195]
	v_add_f64 v[178:179], v[184:185], v[186:187]
	v_mul_f64 v[184:185], v[198:199], v[194:195]
	v_add_f64 v[186:187], v[228:229], v[50:51]
	v_add_f64 v[108:109], v[108:109], v[36:37]
	v_fma_f64 v[36:37], v[86:87], s[12:13], v[210:211]
	v_add_f64 v[50:51], v[66:67], -v[102:103]
	v_fma_f64 v[38:39], v[86:87], s[4:5], v[38:39]
	v_fma_f64 v[56:57], v[114:115], s[6:7], v[56:57]
	v_fma_f64 v[194:195], v[226:227], -0.5, v[124:125]
	v_fma_f64 v[206:207], v[86:87], s[6:7], v[12:13]
	v_fma_f64 v[18:19], v[114:115], s[4:5], v[18:19]
	v_fma_f64 v[86:87], v[86:87], s[8:9], v[210:211]
	v_fma_f64 v[210:211], v[114:115], s[8:9], v[28:29]
	v_fma_f64 v[28:29], v[114:115], s[12:13], v[28:29]
	v_fma_f64 v[114:115], v[80:81], s[8:9], v[88:89]
	v_fma_f64 v[88:89], v[80:81], s[12:13], v[88:89]
	v_fma_f64 v[70:71], v[70:71], -0.5, v[124:125]
	v_add_f64 v[124:125], v[92:93], -v[94:95]
	v_add_f64 v[82:83], v[14:15], v[82:83]
	v_fma_f64 v[228:229], v[100:101], s[12:13], v[182:183]
	v_add_f64 v[68:69], v[68:69], v[222:223]
	v_add_f64 v[188:189], v[188:189], v[196:197]
	v_add_f64 v[196:197], v[24:25], -v[112:113]
	v_fma_f64 v[54:55], v[54:55], -0.5, v[243:244]
	v_add_f64 v[146:147], v[146:147], v[158:159]
	v_add_f64 v[158:159], v[24:25], -v[34:35]
	v_add_f64 v[222:223], v[34:35], -v[24:25]
	v_mul_f64 v[4:5], v[202:203], v[249:250]
	v_fma_f64 v[14:15], v[20:21], s[0:1], v[38:39]
	v_fma_f64 v[12:13], v[154:155], s[0:1], v[56:57]
	v_fma_f64 v[56:57], v[170:171], -0.5, v[132:133]
	v_fma_f64 v[20:21], v[20:21], s[0:1], v[206:207]
	v_fma_f64 v[18:19], v[154:155], s[0:1], v[18:19]
	;; [unrolled: 1-line block ×4, first 2 shown]
	v_add_f64 v[172:173], v[44:45], v[212:213]
	v_add_f64 v[44:45], v[130:131], v[34:35]
	v_fma_f64 v[206:207], v[22:23], -0.5, v[245:246]
	v_fma_f64 v[22:23], v[74:75], s[4:5], v[36:37]
	v_fma_f64 v[36:37], v[74:75], s[6:7], v[86:87]
	;; [unrolled: 1-line block ×3, first 2 shown]
	v_add_f64 v[210:211], v[66:67], -v[92:93]
	v_add_f64 v[66:67], v[66:67], v[40:41]
	v_fma_f64 v[40:41], v[100:101], s[4:5], v[114:115]
	v_fma_f64 v[88:89], v[100:101], s[6:7], v[88:89]
	v_fma_f64 v[100:101], v[100:101], s[8:9], v[182:183]
	v_fma_f64 v[132:133], v[42:43], -0.5, v[132:133]
	v_add_f64 v[42:43], v[34:35], v[116:117]
	v_add_f64 v[124:125], v[50:51], v[124:125]
	;; [unrolled: 1-line block ×3, first 2 shown]
	v_add_f64 v[212:213], v[34:35], -v[116:117]
	v_fma_f64 v[34:35], v[164:165], s[4:5], v[28:29]
	v_mul_f64 v[118:119], v[6:7], v[249:250]
	v_fma_f64 v[4:5], v[6:7], v[247:248], v[4:5]
	v_add_f64 v[78:79], v[200:201], v[78:79]
	v_add_f64 v[200:201], v[102:103], v[94:95]
	v_add_f64 v[38:39], v[112:113], -v[116:117]
	v_fma_f64 v[86:87], v[152:153], s[6:7], v[154:155]
	v_add_f64 v[226:227], v[24:25], v[44:45]
	v_fma_f64 v[182:183], v[152:153], s[8:9], v[26:27]
	v_fma_f64 v[24:25], v[96:97], s[0:1], v[22:23]
	v_fma_f64 v[28:29], v[96:97], s[0:1], v[36:37]
	v_fma_f64 v[96:97], v[84:85], s[8:9], v[134:135]
	v_fma_f64 v[36:37], v[208:209], s[12:13], v[194:195]
	v_add_f64 v[102:103], v[102:103], -v[94:95]
	v_fma_f64 v[40:41], v[76:77], s[0:1], v[40:41]
	v_fma_f64 v[44:45], v[76:77], s[0:1], v[88:89]
	;; [unrolled: 1-line block ×5, first 2 shown]
	v_add_f64 v[134:135], v[92:93], v[66:67]
	v_fma_f64 v[92:93], v[80:81], s[4:5], v[228:229]
	v_fma_f64 v[80:81], v[80:81], s[6:7], v[100:101]
	v_fma_f64 v[100:101], v[64:65], s[12:13], v[62:63]
	v_fma_f64 v[62:63], v[64:65], s[8:9], v[62:63]
	v_fma_f64 v[66:67], v[8:9], s[8:9], v[54:55]
	v_fma_f64 v[54:55], v[8:9], s[12:13], v[54:55]
	v_fma_f64 v[200:201], v[200:201], -0.5, v[245:246]
	v_add_f64 v[154:155], v[158:159], v[38:39]
	v_fma_f64 v[158:159], v[152:153], s[4:5], v[170:171]
	v_fma_f64 v[152:153], v[152:153], s[12:13], v[26:27]
	;; [unrolled: 1-line block ×4, first 2 shown]
	v_fma_f64 v[224:225], v[42:43], -0.5, v[130:131]
	v_fma_f64 v[50:51], v[50:51], -0.5, v[130:131]
	v_add_f64 v[130:131], v[144:145], v[150:151]
	v_fma_f64 v[38:39], v[178:179], s[0:1], v[86:87]
	v_fma_f64 v[86:87], v[90:91], s[12:13], v[70:71]
	;; [unrolled: 1-line block ×7, first 2 shown]
	v_add_f64 v[74:75], v[174:175], v[148:149]
	v_fma_f64 v[168:169], v[52:53], s[12:13], v[56:57]
	v_fma_f64 v[100:101], v[8:9], s[4:5], v[100:101]
	;; [unrolled: 1-line block ×6, first 2 shown]
	v_add_f64 v[194:195], v[162:163], -v[166:167]
	v_fma_f64 v[42:43], v[178:179], s[0:1], v[158:159]
	v_fma_f64 v[158:159], v[190:191], s[6:7], v[182:183]
	v_fma_f64 v[182:183], v[196:197], s[12:13], v[200:201]
	v_fma_f64 v[178:179], v[90:91], s[4:5], v[34:35]
	v_fma_f64 v[90:91], v[90:91], s[6:7], v[36:37]
	v_fma_f64 v[34:35], v[104:105], s[8:9], v[132:133]
	v_fma_f64 v[36:37], v[104:105], s[12:13], v[132:133]
	v_fma_f64 v[132:133], v[196:197], s[8:9], v[200:201]
	v_fma_f64 v[152:153], v[190:191], s[4:5], v[152:153]
	v_fma_f64 v[86:87], v[208:209], s[4:5], v[86:87]
	v_fma_f64 v[70:71], v[208:209], s[6:7], v[70:71]
	v_fma_f64 v[190:191], v[212:213], s[8:9], v[206:207]
	v_fma_f64 v[243:244], v[196:197], s[4:5], v[88:89]
	v_fma_f64 v[72:73], v[130:131], -0.5, v[128:129]
	v_mul_f64 v[138:139], v[98:99], v[138:139]
	v_add_f64 v[164:165], v[116:117], -v[112:113]
	v_fma_f64 v[130:131], v[64:65], s[4:5], v[66:67]
	v_fma_f64 v[88:89], v[214:215], s[0:1], v[8:9]
	s_clause 0x3
	buffer_load_dword v8, off, s[60:63], 0 offset:12
	buffer_load_dword v9, off, s[60:63], 0 offset:16
	;; [unrolled: 1-line block ×4, first 2 shown]
	v_fma_f64 v[241:242], v[102:103], s[12:13], v[50:51]
	v_fma_f64 v[200:201], v[64:65], s[6:7], v[54:55]
	v_add_f64 v[206:207], v[176:177], -v[156:157]
	v_fma_f64 v[168:169], v[104:105], s[6:7], v[168:169]
	v_fma_f64 v[182:183], v[212:213], s[6:7], v[182:183]
	;; [unrolled: 1-line block ×3, first 2 shown]
	v_fma_f64 v[230:231], v[74:75], -0.5, v[128:129]
	v_fma_f64 v[232:233], v[52:53], s[6:7], v[34:35]
	v_fma_f64 v[236:237], v[52:53], s[4:5], v[36:37]
	;; [unrolled: 1-line block ×15, first 2 shown]
	v_add_f64 v[114:115], v[174:175], -v[144:145]
	v_add_f64 v[170:171], v[148:149], -v[150:151]
	v_fma_f64 v[62:63], v[188:189], s[0:1], v[76:77]
	v_fma_f64 v[76:77], v[82:83], s[0:1], v[130:131]
	;; [unrolled: 1-line block ×3, first 2 shown]
	v_fma_f64 v[130:131], v[98:99], v[136:137], -v[218:219]
	v_add_f64 v[98:99], v[144:145], v[128:129]
	v_fma_f64 v[78:79], v[108:109], s[0:1], v[232:233]
	v_fma_f64 v[86:87], v[108:109], s[0:1], v[236:237]
	;; [unrolled: 1-line block ×3, first 2 shown]
	v_fma_f64 v[108:109], v[220:221], v[140:141], -v[216:217]
	v_fma_f64 v[132:133], v[198:199], v[192:193], -v[204:205]
	;; [unrolled: 1-line block ×3, first 2 shown]
	v_add_f64 v[118:119], v[222:223], v[164:165]
	v_fma_f64 v[10:11], v[10:11], v[140:141], v[142:143]
	v_fma_f64 v[142:143], v[210:211], s[4:5], v[241:242]
	;; [unrolled: 1-line block ×3, first 2 shown]
	v_add_f64 v[208:209], v[144:145], -v[174:175]
	v_add_f64 v[228:229], v[176:177], v[156:157]
	v_fma_f64 v[52:53], v[160:161], s[0:1], v[80:81]
	v_fma_f64 v[64:65], v[68:69], s[0:1], v[178:179]
	v_fma_f64 v[68:69], v[68:69], s[0:1], v[90:91]
	v_fma_f64 v[66:67], v[188:189], s[0:1], v[84:85]
	v_fma_f64 v[84:85], v[82:83], s[0:1], v[200:201]
	v_fma_f64 v[82:83], v[146:147], s[0:1], v[104:105]
	v_add_f64 v[90:91], v[150:151], -v[148:149]
	v_fma_f64 v[104:105], v[206:207], s[12:13], v[230:231]
	v_fma_f64 v[110:111], v[102:103], s[6:7], v[239:240]
	;; [unrolled: 1-line block ×4, first 2 shown]
	v_add_f64 v[112:113], v[226:227], v[112:113]
	v_fma_f64 v[140:141], v[210:211], s[6:7], v[212:213]
	v_add_f64 v[122:123], v[162:163], v[166:167]
	v_add_f64 v[160:161], v[108:109], v[132:133]
	v_fma_f64 v[50:51], v[180:181], s[0:1], v[152:153]
	v_fma_f64 v[80:81], v[214:215], s[0:1], v[100:101]
	v_fma_f64 v[200:201], v[172:173], s[0:1], v[243:244]
	v_fma_f64 v[100:101], v[172:173], s[0:1], v[190:191]
	v_add_f64 v[152:153], v[174:175], -v[148:149]
	v_add_f64 v[114:115], v[114:115], v[170:171]
	v_add_f64 v[170:171], v[174:175], v[98:99]
	v_add_f64 v[172:173], v[162:163], -v[176:177]
	v_add_f64 v[174:175], v[166:167], -v[156:157]
	v_fma_f64 v[98:99], v[118:119], s[0:1], v[142:143]
	v_add_f64 v[142:143], v[4:5], v[120:121]
	v_fma_f64 v[74:75], v[146:147], s[0:1], v[168:169]
	v_fma_f64 v[136:137], v[206:207], s[4:5], v[158:159]
	;; [unrolled: 1-line block ×3, first 2 shown]
	v_add_f64 v[158:159], v[208:209], v[90:91]
	v_fma_f64 v[164:165], v[194:195], s[4:5], v[104:105]
	v_fma_f64 v[168:169], v[206:207], s[8:9], v[230:231]
	v_add_f64 v[104:105], v[94:95], v[134:135]
	v_add_f64 v[134:135], v[124:125], v[130:131]
	v_add_f64 v[178:179], v[10:11], v[16:17]
	v_fma_f64 v[94:95], v[154:155], s[0:1], v[102:103]
	v_add_f64 v[102:103], v[112:113], v[116:117]
	v_add_f64 v[116:117], v[4:5], -v[120:121]
	v_fma_f64 v[128:129], v[160:161], -0.5, v[106:107]
	v_fma_f64 v[198:199], v[118:119], s[0:1], v[140:141]
	v_add_f64 v[140:141], v[144:145], -v[150:151]
	v_fma_f64 v[90:91], v[154:155], s[0:1], v[110:111]
	v_add_f64 v[154:155], v[108:109], v[106:107]
	v_add_f64 v[148:149], v[148:149], v[170:171]
	v_add_f64 v[170:171], v[176:177], -v[162:163]
	v_add_f64 v[160:161], v[172:173], v[174:175]
	v_add_f64 v[172:173], v[156:157], -v[166:167]
	v_add_f64 v[174:175], v[108:109], -v[132:133]
	v_add_f64 v[182:183], v[132:133], -v[130:131]
	v_fma_f64 v[110:111], v[114:115], s[0:1], v[136:137]
	v_fma_f64 v[114:115], v[114:115], s[0:1], v[138:139]
	v_add_f64 v[138:139], v[10:11], -v[16:17]
	v_fma_f64 v[118:119], v[158:159], s[0:1], v[164:165]
	v_fma_f64 v[136:137], v[194:195], s[6:7], v[168:169]
	v_add_f64 v[168:169], v[124:125], -v[130:131]
	v_fma_f64 v[134:135], v[134:135], -0.5, v[106:107]
	v_mul_hi_u32 v190, 0x44d72045, v238
	v_add_f64 v[186:187], v[120:121], -v[16:17]
	v_fma_f64 v[180:181], v[116:117], s[8:9], v[128:129]
	v_fma_f64 v[128:129], v[116:117], s[12:13], v[128:129]
	v_add_f64 v[170:171], v[170:171], v[172:173]
	v_add_f64 v[172:173], v[16:17], -v[120:121]
	v_fma_f64 v[184:185], v[138:139], s[12:13], v[134:135]
	v_fma_f64 v[134:135], v[138:139], s[8:9], v[134:135]
	;; [unrolled: 1-line block ×3, first 2 shown]
	s_waitcnt vmcnt(2)
	v_fma_f64 v[146:147], v[228:229], -0.5, v[8:9]
	v_add_f64 v[112:113], v[8:9], v[176:177]
	v_fma_f64 v[122:123], v[122:123], -0.5, v[8:9]
	s_waitcnt vmcnt(0)
	v_fma_f64 v[142:143], v[142:143], -0.5, v[6:7]
	v_add_f64 v[126:127], v[6:7], v[10:11]
	v_fma_f64 v[164:165], v[178:179], -0.5, v[6:7]
	v_add_f64 v[178:179], v[130:131], -v[132:133]
	v_fma_f64 v[144:145], v[152:153], s[12:13], v[146:147]
	v_fma_f64 v[146:147], v[152:153], s[8:9], v[146:147]
	v_add_f64 v[112:113], v[162:163], v[112:113]
	v_add_f64 v[162:163], v[124:125], -v[108:109]
	v_add_f64 v[108:109], v[108:109], -v[124:125]
	v_fma_f64 v[176:177], v[140:141], s[8:9], v[122:123]
	v_fma_f64 v[122:123], v[140:141], s[12:13], v[122:123]
	v_add_f64 v[124:125], v[124:125], v[154:155]
	v_add_f64 v[154:155], v[4:5], -v[10:11]
	v_add_f64 v[10:11], v[10:11], -v[4:5]
	v_fma_f64 v[188:189], v[174:175], s[8:9], v[142:143]
	v_fma_f64 v[142:143], v[174:175], s[12:13], v[142:143]
	v_add_f64 v[4:5], v[4:5], v[126:127]
	v_add_f64 v[126:127], v[150:151], v[148:149]
	v_fma_f64 v[144:145], v[140:141], s[6:7], v[144:145]
	v_fma_f64 v[140:141], v[140:141], s[4:5], v[146:147]
	;; [unrolled: 1-line block ×4, first 2 shown]
	v_add_f64 v[162:163], v[162:163], v[178:179]
	v_fma_f64 v[178:179], v[138:139], s[4:5], v[180:181]
	v_add_f64 v[180:181], v[108:109], v[182:183]
	v_lshrrev_b32_e32 v108, 5, v190
	v_fma_f64 v[176:177], v[152:153], s[6:7], v[176:177]
	v_fma_f64 v[152:153], v[152:153], s[4:5], v[122:123]
	;; [unrolled: 1-line block ×3, first 2 shown]
	v_add_f64 v[10:11], v[10:11], v[172:173]
	v_mul_lo_u32 v108, 0x77, v108
	v_fma_f64 v[136:137], v[168:169], s[6:7], v[188:189]
	v_fma_f64 v[148:149], v[168:169], s[4:5], v[142:143]
	v_add_f64 v[4:5], v[4:5], v[120:121]
	v_fma_f64 v[138:139], v[116:117], s[4:5], v[184:185]
	v_add_f64 v[184:185], v[130:131], v[124:125]
	v_add_f64 v[154:155], v[154:155], v[186:187]
	;; [unrolled: 1-line block ×3, first 2 shown]
	v_sub_nc_u32_e32 v158, v238, v108
	v_fma_f64 v[182:183], v[116:117], s[6:7], v[134:135]
	v_fma_f64 v[108:109], v[160:161], s[0:1], v[144:145]
	;; [unrolled: 1-line block ×4, first 2 shown]
	v_mad_u64_u32 v[150:151], null, s2, v158, 0
	v_fma_f64 v[164:165], v[174:175], s[4:5], v[164:165]
	v_fma_f64 v[134:135], v[162:163], s[0:1], v[128:129]
	;; [unrolled: 1-line block ×5, first 2 shown]
	v_add_nc_u32_e32 v153, 0xee, v158
	v_mov_b32_e32 v140, v151
	v_fma_f64 v[136:137], v[10:11], s[0:1], v[136:137]
	v_add_f64 v[144:145], v[4:5], v[16:17]
	v_mad_u64_u32 v[151:152], null, s3, v158, v[140:141]
	v_add_nc_u32_e32 v152, 0x77, v158
	v_fma_f64 v[140:141], v[10:11], s[0:1], v[148:149]
	v_lshlrev_b64 v[10:11], 4, v[253:254]
	v_add_f64 v[146:147], v[132:133], v[184:185]
	v_mad_u64_u32 v[16:17], null, s2, v153, 0
	v_mad_u64_u32 v[106:107], null, s2, v152, 0
	v_add_co_u32 v5, vcc_lo, s10, v10
	v_fma_f64 v[128:129], v[154:155], s[0:1], v[186:187]
	v_fma_f64 v[132:133], v[154:155], s[0:1], v[164:165]
	v_add_co_ci_u32_e32 v154, vcc_lo, s11, v11, vcc_lo
	v_lshlrev_b64 v[10:11], 4, v[234:235]
	v_mov_b32_e32 v4, v107
	v_add_nc_u32_e32 v155, 0x165, v158
	v_add_f64 v[124:125], v[166:167], v[156:157]
	v_add_nc_u32_e32 v157, 0x1dc, v158
	v_fma_f64 v[142:143], v[180:181], s[0:1], v[182:183]
	v_mad_u64_u32 v[148:149], null, s3, v152, v[4:5]
	v_add_co_u32 v4, vcc_lo, v5, v10
	v_add_co_ci_u32_e32 v5, vcc_lo, v154, v11, vcc_lo
	v_add_nc_u32_e32 v154, 17, v238
	v_lshlrev_b64 v[10:11], 4, v[150:151]
	v_mov_b32_e32 v107, v148
	v_mad_u64_u32 v[148:149], null, s3, v153, v[17:18]
	v_mul_hi_u32 v151, 0x44d72045, v154
	v_mad_u64_u32 v[149:150], null, s2, v155, 0
	v_lshlrev_b64 v[106:107], 4, v[106:107]
	v_add_co_u32 v10, vcc_lo, v4, v10
	v_mov_b32_e32 v17, v148
	v_add_co_ci_u32_e32 v11, vcc_lo, v5, v11, vcc_lo
	v_lshrrev_b32_e32 v156, 5, v151
	v_mov_b32_e32 v148, v150
	v_mad_u64_u32 v[151:152], null, s2, v157, 0
	v_lshlrev_b64 v[16:17], 4, v[16:17]
	v_mul_lo_u32 v150, 0x77, v156
	v_add_co_u32 v106, vcc_lo, v4, v106
	v_add_co_ci_u32_e32 v107, vcc_lo, v5, v107, vcc_lo
	v_add_co_u32 v16, vcc_lo, v4, v16
	v_add_co_ci_u32_e32 v17, vcc_lo, v5, v17, vcc_lo
	v_sub_nc_u32_e32 v150, v154, v150
	v_mad_u64_u32 v[153:154], null, s3, v155, v[148:149]
	v_mov_b32_e32 v148, v152
	global_store_dwordx4 v[10:11], v[144:147], off
	v_mad_u64_u32 v[154:155], null, 0x253, v156, v[150:151]
	global_store_dwordx4 v[106:107], v[140:143], off
	global_store_dwordx4 v[16:17], v[132:135], off
	v_mad_u64_u32 v[155:156], null, s3, v157, v[148:149]
	v_fma_f64 v[138:139], v[180:181], s[0:1], v[138:139]
	v_mov_b32_e32 v150, v153
	v_add_nc_u32_e32 v135, 34, v238
	v_mad_u64_u32 v[156:157], null, s2, v154, 0
	v_add_nc_u32_e32 v134, 0x77, v154
	v_mov_b32_e32 v152, v155
	v_lshlrev_b64 v[10:11], 4, v[149:150]
	v_mad_u64_u32 v[106:107], null, s2, v134, 0
	v_mov_b32_e32 v16, v157
	v_lshlrev_b64 v[132:133], 4, v[151:152]
	v_add_co_u32 v10, vcc_lo, v4, v10
	v_add_co_ci_u32_e32 v11, vcc_lo, v5, v11, vcc_lo
	v_mad_u64_u32 v[16:17], null, s3, v154, v[16:17]
	v_mov_b32_e32 v17, v107
	v_add_co_u32 v132, vcc_lo, v4, v132
	v_add_co_ci_u32_e32 v133, vcc_lo, v5, v133, vcc_lo
	global_store_dwordx4 v[10:11], v[128:131], off
	global_store_dwordx4 v[132:133], v[136:139], off
	v_mov_b32_e32 v157, v16
	v_mad_u64_u32 v[16:17], null, s3, v134, v[17:18]
	v_add_nc_u32_e32 v134, 0xee, v154
	v_mul_hi_u32 v17, 0x44d72045, v135
	v_add_nc_u32_e32 v137, 0x165, v154
	v_add_nc_u32_e32 v138, 0x1dc, v154
	v_lshlrev_b64 v[10:11], 4, v[156:157]
	v_mad_u64_u32 v[128:129], null, s2, v134, 0
	v_mov_b32_e32 v107, v16
	v_mad_u64_u32 v[130:131], null, s2, v137, 0
	v_lshrrev_b32_e32 v136, 5, v17
	v_mad_u64_u32 v[132:133], null, s2, v138, 0
	v_lshlrev_b64 v[16:17], 4, v[106:107]
	v_mov_b32_e32 v106, v129
	v_mul_lo_u32 v129, 0x77, v136
	v_add_co_u32 v10, vcc_lo, v4, v10
	v_add_co_ci_u32_e32 v11, vcc_lo, v5, v11, vcc_lo
	v_mad_u64_u32 v[106:107], null, s3, v134, v[106:107]
	v_add_co_u32 v16, vcc_lo, v4, v16
	v_sub_nc_u32_e32 v107, v135, v129
	v_add_co_ci_u32_e32 v17, vcc_lo, v5, v17, vcc_lo
	global_store_dwordx4 v[10:11], v[124:127], off
	v_mov_b32_e32 v129, v106
	v_mad_u64_u32 v[134:135], null, 0x253, v136, v[107:108]
	v_mov_b32_e32 v106, v131
	v_mov_b32_e32 v107, v133
	v_lshlrev_b64 v[128:129], 4, v[128:129]
	v_add_nc_u32_e32 v125, 51, v238
	v_mad_u64_u32 v[135:136], null, s3, v137, v[106:107]
	v_mad_u64_u32 v[136:137], null, s2, v134, 0
	v_add_co_u32 v128, vcc_lo, v4, v128
	v_add_co_ci_u32_e32 v129, vcc_lo, v5, v129, vcc_lo
	global_store_dwordx4 v[16:17], v[120:123], off
	global_store_dwordx4 v[128:129], v[112:115], off
	v_mov_b32_e32 v16, v137
	v_add_nc_u32_e32 v122, 0x77, v134
	v_add_nc_u32_e32 v124, 0xee, v134
	v_mad_u64_u32 v[106:107], null, s3, v138, v[107:108]
	v_mad_u64_u32 v[16:17], null, s3, v134, v[16:17]
	v_mad_u64_u32 v[112:113], null, s2, v122, 0
	v_mad_u64_u32 v[114:115], null, s2, v124, 0
	v_mov_b32_e32 v131, v135
	v_mov_b32_e32 v133, v106
	;; [unrolled: 1-line block ×3, first 2 shown]
	v_mul_hi_u32 v126, 0x44d72045, v125
	v_mov_b32_e32 v16, v113
	v_lshlrev_b64 v[10:11], 4, v[130:131]
	v_mov_b32_e32 v17, v115
	v_lshlrev_b64 v[106:107], 4, v[132:133]
	v_lshlrev_b64 v[120:121], 4, v[136:137]
	v_mad_u64_u32 v[122:123], null, s3, v122, v[16:17]
	v_mad_u64_u32 v[16:17], null, s3, v124, v[17:18]
	v_add_nc_u32_e32 v17, 0x165, v134
	v_add_co_u32 v10, vcc_lo, v4, v10
	v_add_co_ci_u32_e32 v11, vcc_lo, v5, v11, vcc_lo
	v_mad_u64_u32 v[123:124], null, s2, v17, 0
	v_add_co_u32 v106, vcc_lo, v4, v106
	v_add_co_ci_u32_e32 v107, vcc_lo, v5, v107, vcc_lo
	v_add_co_u32 v120, vcc_lo, v4, v120
	v_mov_b32_e32 v115, v16
	v_mov_b32_e32 v16, v124
	v_add_co_ci_u32_e32 v121, vcc_lo, v5, v121, vcc_lo
	global_store_dwordx4 v[10:11], v[108:111], off
	global_store_dwordx4 v[106:107], v[116:119], off
	v_lshrrev_b32_e32 v107, 5, v126
	v_add_nc_u32_e32 v109, 0x1dc, v134
	v_mad_u64_u32 v[16:17], null, s3, v17, v[16:17]
	global_store_dwordx4 v[120:121], v[102:105], off
	v_mul_lo_u32 v17, 0x77, v107
	v_mad_u64_u32 v[104:105], null, s2, v109, 0
	v_mov_b32_e32 v113, v122
	v_lshlrev_b64 v[102:103], 4, v[114:115]
	v_mov_b32_e32 v124, v16
	v_sub_nc_u32_e32 v16, v125, v17
	v_mov_b32_e32 v17, v105
	v_lshlrev_b64 v[10:11], 4, v[112:113]
	v_lshlrev_b64 v[105:106], 4, v[123:124]
	v_mad_u64_u32 v[107:108], null, 0x253, v107, v[16:17]
	v_add_co_u32 v10, vcc_lo, v4, v10
	v_add_co_ci_u32_e32 v11, vcc_lo, v5, v11, vcc_lo
	v_add_co_u32 v102, vcc_lo, v4, v102
	v_mad_u64_u32 v[16:17], null, s3, v109, v[17:18]
	v_add_co_ci_u32_e32 v103, vcc_lo, v5, v103, vcc_lo
	v_add_co_u32 v108, vcc_lo, v4, v105
	v_mad_u64_u32 v[110:111], null, s2, v107, 0
	v_add_co_ci_u32_e32 v109, vcc_lo, v5, v106, vcc_lo
	global_store_dwordx4 v[10:11], v[98:101], off
	v_mov_b32_e32 v105, v16
	global_store_dwordx4 v[102:103], v[94:97], off
	global_store_dwordx4 v[108:109], v[90:93], off
	v_add_nc_u32_e32 v96, 0x44, v238
	v_mov_b32_e32 v16, v111
	v_add_nc_u32_e32 v94, 0x77, v107
	v_lshlrev_b64 v[10:11], 4, v[104:105]
	v_add_nc_u32_e32 v97, 0xee, v107
	v_mul_hi_u32 v95, 0x44d72045, v96
	v_mad_u64_u32 v[16:17], null, s3, v107, v[16:17]
	v_mad_u64_u32 v[90:91], null, s2, v94, 0
	v_add_co_u32 v10, vcc_lo, v4, v10
	v_add_co_ci_u32_e32 v11, vcc_lo, v5, v11, vcc_lo
	v_mad_u64_u32 v[92:93], null, s2, v97, 0
	v_lshrrev_b32_e32 v98, 5, v95
	v_mov_b32_e32 v111, v16
	v_mov_b32_e32 v17, v91
	global_store_dwordx4 v[10:11], v[198:201], off
	v_add_nc_u32_e32 v99, 0x165, v107
	v_mul_lo_u32 v11, 0x77, v98
	v_lshlrev_b64 v[9:10], 4, v[110:111]
	v_mad_u64_u32 v[94:95], null, s3, v94, v[17:18]
	v_mov_b32_e32 v8, v93
	v_add_nc_u32_e32 v100, 0x1dc, v107
	v_mad_u64_u32 v[6:7], null, s2, v99, 0
	v_mad_u64_u32 v[16:17], null, s3, v97, v[8:9]
	v_sub_nc_u32_e32 v8, v96, v11
	v_mov_b32_e32 v91, v94
	v_mad_u64_u32 v[94:95], null, s2, v100, 0
	v_mad_u64_u32 v[96:97], null, 0x253, v98, v[8:9]
	v_add_co_u32 v8, vcc_lo, v4, v9
	v_add_co_ci_u32_e32 v9, vcc_lo, v5, v10, vcc_lo
	v_lshlrev_b64 v[10:11], 4, v[90:91]
	v_mov_b32_e32 v93, v16
	v_mad_u64_u32 v[90:91], null, s2, v96, 0
	v_mad_u64_u32 v[16:17], null, s3, v99, v[7:8]
	v_add_co_u32 v10, vcc_lo, v4, v10
	v_add_co_ci_u32_e32 v11, vcc_lo, v5, v11, vcc_lo
	global_store_dwordx4 v[8:9], v[58:61], off
	v_lshlrev_b64 v[8:9], 4, v[92:93]
	v_mov_b32_e32 v7, v95
	global_store_dwordx4 v[10:11], v[86:89], off
	v_mov_b32_e32 v10, v91
	v_add_nc_u32_e32 v60, 0x77, v96
	v_add_nc_u32_e32 v86, 0x55, v238
	v_mad_u64_u32 v[58:59], null, s3, v100, v[7:8]
	v_add_co_u32 v8, vcc_lo, v4, v8
	v_mad_u64_u32 v[10:11], null, s3, v96, v[10:11]
	v_add_co_ci_u32_e32 v9, vcc_lo, v5, v9, vcc_lo
	v_mov_b32_e32 v7, v16
	v_mov_b32_e32 v95, v58
	global_store_dwordx4 v[8:9], v[82:85], off
	v_add_nc_u32_e32 v84, 0xee, v96
	v_mov_b32_e32 v91, v10
	v_mad_u64_u32 v[10:11], null, s2, v60, 0
	v_mul_hi_u32 v82, 0x44d72045, v86
	v_mad_u64_u32 v[58:59], null, s2, v84, 0
	v_lshlrev_b64 v[6:7], 4, v[6:7]
	v_lshlrev_b64 v[8:9], 4, v[94:95]
	;; [unrolled: 1-line block ×3, first 2 shown]
	v_mad_u64_u32 v[60:61], null, s3, v60, v[11:12]
	v_add_nc_u32_e32 v61, 0x165, v96
	v_mov_b32_e32 v11, v59
	v_lshrrev_b32_e32 v87, 5, v82
	v_add_co_u32 v6, vcc_lo, v4, v6
	v_add_co_ci_u32_e32 v7, vcc_lo, v5, v7, vcc_lo
	v_add_co_u32 v8, vcc_lo, v4, v8
	v_mad_u64_u32 v[82:83], null, s2, v61, 0
	v_mad_u64_u32 v[84:85], null, s3, v84, v[11:12]
	v_mov_b32_e32 v11, v60
	v_mul_lo_u32 v60, 0x77, v87
	v_add_co_ci_u32_e32 v9, vcc_lo, v5, v9, vcc_lo
	v_add_co_u32 v16, vcc_lo, v4, v16
	v_add_co_ci_u32_e32 v17, vcc_lo, v5, v17, vcc_lo
	global_store_dwordx4 v[6:7], v[74:77], off
	global_store_dwordx4 v[8:9], v[78:81], off
	;; [unrolled: 1-line block ×3, first 2 shown]
	v_mov_b32_e32 v8, v83
	v_sub_nc_u32_e32 v9, v86, v60
	v_lshlrev_b64 v[6:7], 4, v[10:11]
	v_add_nc_u32_e32 v48, 0x1dc, v96
	v_mov_b32_e32 v59, v84
	v_mad_u64_u32 v[10:11], null, s3, v61, v[8:9]
	v_mad_u64_u32 v[16:17], null, s2, v48, 0
	v_lshlrev_b64 v[46:47], 4, v[58:59]
	v_add_co_u32 v6, vcc_lo, v4, v6
	v_add_co_ci_u32_e32 v7, vcc_lo, v5, v7, vcc_lo
	v_mad_u64_u32 v[8:9], null, 0x253, v87, v[9:10]
	v_mov_b32_e32 v83, v10
	v_mov_b32_e32 v9, v17
	v_add_co_u32 v46, vcc_lo, v4, v46
	v_add_co_ci_u32_e32 v47, vcc_lo, v5, v47, vcc_lo
	v_mad_u64_u32 v[10:11], null, s2, v8, 0
	v_add_nc_u32_e32 v74, 0x77, v8
	v_lshlrev_b64 v[58:59], 4, v[82:83]
	global_store_dwordx4 v[6:7], v[70:73], off
	global_store_dwordx4 v[46:47], v[66:69], off
	v_mad_u64_u32 v[48:49], null, s3, v48, v[9:10]
	v_add_co_u32 v58, vcc_lo, v4, v58
	v_mov_b32_e32 v9, v11
	v_add_co_ci_u32_e32 v59, vcc_lo, v5, v59, vcc_lo
	v_mov_b32_e32 v17, v48
	v_mad_u64_u32 v[48:49], null, s2, v74, 0
	v_mad_u64_u32 v[60:61], null, s3, v8, v[9:10]
	global_store_dwordx4 v[58:59], v[62:65], off
	v_add_nc_u32_e32 v59, 0x165, v8
	v_add_nc_u32_e32 v58, 0xee, v8
	;; [unrolled: 1-line block ×3, first 2 shown]
	v_mov_b32_e32 v6, v49
	v_lshlrev_b64 v[16:17], 4, v[16:17]
	v_mad_u64_u32 v[46:47], null, s2, v59, 0
	v_mov_b32_e32 v11, v60
	v_mad_u64_u32 v[6:7], null, s3, v74, v[6:7]
	v_add_nc_u32_e32 v62, 0x1dc, v8
	v_add_co_u32 v16, vcc_lo, v4, v16
	v_lshlrev_b64 v[9:10], 4, v[10:11]
	v_mov_b32_e32 v11, v47
	v_mul_hi_u32 v47, 0x44d72045, v61
	v_mov_b32_e32 v49, v6
	v_mad_u64_u32 v[6:7], null, s2, v58, 0
	v_add_co_ci_u32_e32 v17, vcc_lo, v5, v17, vcc_lo
	v_add_co_u32 v9, vcc_lo, v4, v9
	v_lshrrev_b32_e32 v63, 5, v47
	v_add_co_ci_u32_e32 v10, vcc_lo, v5, v10, vcc_lo
	v_mad_u64_u32 v[7:8], null, s3, v58, v[7:8]
	v_mad_u64_u32 v[58:59], null, s3, v59, v[11:12]
	v_mul_lo_u32 v11, 0x77, v63
	v_mad_u64_u32 v[59:60], null, s2, v62, 0
	global_store_dwordx4 v[16:17], v[54:57], off
	global_store_dwordx4 v[9:10], v[30:33], off
	v_lshlrev_b64 v[48:49], 4, v[48:49]
	v_lshlrev_b64 v[6:7], 4, v[6:7]
	v_mov_b32_e32 v47, v58
	v_sub_nc_u32_e32 v9, v61, v11
	v_mov_b32_e32 v8, v60
	v_add_co_u32 v48, vcc_lo, v4, v48
	v_lshlrev_b64 v[10:11], 4, v[46:47]
	v_add_co_ci_u32_e32 v49, vcc_lo, v5, v49, vcc_lo
	v_mad_u64_u32 v[16:17], null, s3, v62, v[8:9]
	v_add_co_u32 v6, vcc_lo, v4, v6
	v_mad_u64_u32 v[8:9], null, 0x253, v63, v[9:10]
	v_add_co_ci_u32_e32 v7, vcc_lo, v5, v7, vcc_lo
	v_mov_b32_e32 v60, v16
	v_add_co_u32 v9, vcc_lo, v4, v10
	v_add_co_ci_u32_e32 v10, vcc_lo, v5, v11, vcc_lo
	v_mad_u64_u32 v[16:17], null, s2, v8, 0
	global_store_dwordx4 v[48:49], v[50:53], off
	global_store_dwordx4 v[6:7], v[42:45], off
	v_add_nc_u32_e32 v42, 0x77, v8
	global_store_dwordx4 v[9:10], v[38:41], off
	v_add_nc_u32_e32 v40, 0xee, v8
	v_lshlrev_b64 v[6:7], 4, v[59:60]
	v_mov_b32_e32 v11, v17
	v_mad_u64_u32 v[9:10], null, s2, v42, 0
	v_add_nc_u32_e32 v43, 0x165, v8
	v_mad_u64_u32 v[30:31], null, s2, v40, 0
	v_mad_u64_u32 v[32:33], null, s3, v8, v[11:12]
	v_add_co_u32 v6, vcc_lo, v4, v6
	v_mad_u64_u32 v[38:39], null, s2, v43, 0
	v_add_co_ci_u32_e32 v7, vcc_lo, v5, v7, vcc_lo
	v_mov_b32_e32 v17, v32
	v_mad_u64_u32 v[10:11], null, s3, v42, v[10:11]
	v_add_nc_u32_e32 v42, 0x1dc, v8
	v_mov_b32_e32 v11, v31
	global_store_dwordx4 v[6:7], v[34:37], off
	v_lshlrev_b64 v[7:8], 4, v[16:17]
	v_mov_b32_e32 v6, v39
	v_mad_u64_u32 v[32:33], null, s2, v42, 0
	v_mad_u64_u32 v[40:41], null, s3, v40, v[11:12]
	v_mad_u64_u32 v[16:17], null, s3, v43, v[6:7]
	v_add_co_u32 v7, vcc_lo, v4, v7
	v_mov_b32_e32 v6, v33
	v_lshlrev_b64 v[9:10], 4, v[9:10]
	v_mov_b32_e32 v31, v40
	v_add_co_ci_u32_e32 v8, vcc_lo, v5, v8, vcc_lo
	v_mad_u64_u32 v[33:34], null, s3, v42, v[6:7]
	v_mov_b32_e32 v39, v16
	v_lshlrev_b64 v[30:31], 4, v[30:31]
	v_add_co_u32 v9, vcc_lo, v4, v9
	v_add_co_ci_u32_e32 v10, vcc_lo, v5, v10, vcc_lo
	v_lshlrev_b64 v[16:17], 4, v[38:39]
	v_add_co_u32 v30, vcc_lo, v4, v30
	v_lshlrev_b64 v[32:33], 4, v[32:33]
	v_add_co_ci_u32_e32 v31, vcc_lo, v5, v31, vcc_lo
	v_add_co_u32 v16, vcc_lo, v4, v16
	v_add_co_ci_u32_e32 v17, vcc_lo, v5, v17, vcc_lo
	v_add_co_u32 v4, vcc_lo, v4, v32
	v_add_co_ci_u32_e32 v5, vcc_lo, v5, v33, vcc_lo
	global_store_dwordx4 v[7:8], v[0:3], off
	global_store_dwordx4 v[9:10], v[26:29], off
	;; [unrolled: 1-line block ×5, first 2 shown]
.LBB0_22:
	s_endpgm
	.section	.rodata,"a",@progbits
	.p2align	6, 0x0
	.amdhsa_kernel fft_rtc_back_len595_factors_7_17_5_wgs_51_tpt_17_halfLds_dp_op_CI_CI_sbrr_dirReg
		.amdhsa_group_segment_fixed_size 0
		.amdhsa_private_segment_fixed_size 588
		.amdhsa_kernarg_size 104
		.amdhsa_user_sgpr_count 6
		.amdhsa_user_sgpr_private_segment_buffer 1
		.amdhsa_user_sgpr_dispatch_ptr 0
		.amdhsa_user_sgpr_queue_ptr 0
		.amdhsa_user_sgpr_kernarg_segment_ptr 1
		.amdhsa_user_sgpr_dispatch_id 0
		.amdhsa_user_sgpr_flat_scratch_init 0
		.amdhsa_user_sgpr_private_segment_size 0
		.amdhsa_wavefront_size32 1
		.amdhsa_uses_dynamic_stack 0
		.amdhsa_system_sgpr_private_segment_wavefront_offset 1
		.amdhsa_system_sgpr_workgroup_id_x 1
		.amdhsa_system_sgpr_workgroup_id_y 0
		.amdhsa_system_sgpr_workgroup_id_z 0
		.amdhsa_system_sgpr_workgroup_info 0
		.amdhsa_system_vgpr_workitem_id 0
		.amdhsa_next_free_vgpr 256
		.amdhsa_next_free_sgpr 64
		.amdhsa_reserve_vcc 1
		.amdhsa_reserve_flat_scratch 0
		.amdhsa_float_round_mode_32 0
		.amdhsa_float_round_mode_16_64 0
		.amdhsa_float_denorm_mode_32 3
		.amdhsa_float_denorm_mode_16_64 3
		.amdhsa_dx10_clamp 1
		.amdhsa_ieee_mode 1
		.amdhsa_fp16_overflow 0
		.amdhsa_workgroup_processor_mode 1
		.amdhsa_memory_ordered 1
		.amdhsa_forward_progress 0
		.amdhsa_shared_vgpr_count 0
		.amdhsa_exception_fp_ieee_invalid_op 0
		.amdhsa_exception_fp_denorm_src 0
		.amdhsa_exception_fp_ieee_div_zero 0
		.amdhsa_exception_fp_ieee_overflow 0
		.amdhsa_exception_fp_ieee_underflow 0
		.amdhsa_exception_fp_ieee_inexact 0
		.amdhsa_exception_int_div_zero 0
	.end_amdhsa_kernel
	.text
.Lfunc_end0:
	.size	fft_rtc_back_len595_factors_7_17_5_wgs_51_tpt_17_halfLds_dp_op_CI_CI_sbrr_dirReg, .Lfunc_end0-fft_rtc_back_len595_factors_7_17_5_wgs_51_tpt_17_halfLds_dp_op_CI_CI_sbrr_dirReg
                                        ; -- End function
	.section	.AMDGPU.csdata,"",@progbits
; Kernel info:
; codeLenInByte = 39824
; NumSgprs: 66
; NumVgprs: 256
; ScratchSize: 588
; MemoryBound: 1
; FloatMode: 240
; IeeeMode: 1
; LDSByteSize: 0 bytes/workgroup (compile time only)
; SGPRBlocks: 8
; VGPRBlocks: 31
; NumSGPRsForWavesPerEU: 66
; NumVGPRsForWavesPerEU: 256
; Occupancy: 4
; WaveLimiterHint : 1
; COMPUTE_PGM_RSRC2:SCRATCH_EN: 1
; COMPUTE_PGM_RSRC2:USER_SGPR: 6
; COMPUTE_PGM_RSRC2:TRAP_HANDLER: 0
; COMPUTE_PGM_RSRC2:TGID_X_EN: 1
; COMPUTE_PGM_RSRC2:TGID_Y_EN: 0
; COMPUTE_PGM_RSRC2:TGID_Z_EN: 0
; COMPUTE_PGM_RSRC2:TIDIG_COMP_CNT: 0
	.text
	.p2alignl 6, 3214868480
	.fill 48, 4, 3214868480
	.type	__hip_cuid_f3f8d4e4ba47bfca,@object ; @__hip_cuid_f3f8d4e4ba47bfca
	.section	.bss,"aw",@nobits
	.globl	__hip_cuid_f3f8d4e4ba47bfca
__hip_cuid_f3f8d4e4ba47bfca:
	.byte	0                               ; 0x0
	.size	__hip_cuid_f3f8d4e4ba47bfca, 1

	.ident	"AMD clang version 19.0.0git (https://github.com/RadeonOpenCompute/llvm-project roc-6.4.0 25133 c7fe45cf4b819c5991fe208aaa96edf142730f1d)"
	.section	".note.GNU-stack","",@progbits
	.addrsig
	.addrsig_sym __hip_cuid_f3f8d4e4ba47bfca
	.amdgpu_metadata
---
amdhsa.kernels:
  - .args:
      - .actual_access:  read_only
        .address_space:  global
        .offset:         0
        .size:           8
        .value_kind:     global_buffer
      - .offset:         8
        .size:           8
        .value_kind:     by_value
      - .actual_access:  read_only
        .address_space:  global
        .offset:         16
        .size:           8
        .value_kind:     global_buffer
      - .actual_access:  read_only
        .address_space:  global
        .offset:         24
        .size:           8
        .value_kind:     global_buffer
      - .actual_access:  read_only
        .address_space:  global
        .offset:         32
        .size:           8
        .value_kind:     global_buffer
      - .offset:         40
        .size:           8
        .value_kind:     by_value
      - .actual_access:  read_only
        .address_space:  global
        .offset:         48
        .size:           8
        .value_kind:     global_buffer
      - .actual_access:  read_only
        .address_space:  global
        .offset:         56
        .size:           8
        .value_kind:     global_buffer
      - .offset:         64
        .size:           4
        .value_kind:     by_value
      - .actual_access:  read_only
        .address_space:  global
        .offset:         72
        .size:           8
        .value_kind:     global_buffer
      - .actual_access:  read_only
        .address_space:  global
        .offset:         80
        .size:           8
        .value_kind:     global_buffer
      - .actual_access:  read_only
        .address_space:  global
        .offset:         88
        .size:           8
        .value_kind:     global_buffer
      - .actual_access:  write_only
        .address_space:  global
        .offset:         96
        .size:           8
        .value_kind:     global_buffer
    .group_segment_fixed_size: 0
    .kernarg_segment_align: 8
    .kernarg_segment_size: 104
    .language:       OpenCL C
    .language_version:
      - 2
      - 0
    .max_flat_workgroup_size: 51
    .name:           fft_rtc_back_len595_factors_7_17_5_wgs_51_tpt_17_halfLds_dp_op_CI_CI_sbrr_dirReg
    .private_segment_fixed_size: 588
    .sgpr_count:     66
    .sgpr_spill_count: 0
    .symbol:         fft_rtc_back_len595_factors_7_17_5_wgs_51_tpt_17_halfLds_dp_op_CI_CI_sbrr_dirReg.kd
    .uniform_work_group_size: 1
    .uses_dynamic_stack: false
    .vgpr_count:     256
    .vgpr_spill_count: 150
    .wavefront_size: 32
    .workgroup_processor_mode: 1
amdhsa.target:   amdgcn-amd-amdhsa--gfx1030
amdhsa.version:
  - 1
  - 2
...

	.end_amdgpu_metadata
